;; amdgpu-corpus repo=ROCm/rocFFT kind=compiled arch=gfx950 opt=O3
	.text
	.amdgcn_target "amdgcn-amd-amdhsa--gfx950"
	.amdhsa_code_object_version 6
	.protected	fft_rtc_fwd_len1300_factors_10_10_13_wgs_130_tpt_130_sp_op_CI_CI_unitstride_sbrr_C2R_dirReg ; -- Begin function fft_rtc_fwd_len1300_factors_10_10_13_wgs_130_tpt_130_sp_op_CI_CI_unitstride_sbrr_C2R_dirReg
	.globl	fft_rtc_fwd_len1300_factors_10_10_13_wgs_130_tpt_130_sp_op_CI_CI_unitstride_sbrr_C2R_dirReg
	.p2align	8
	.type	fft_rtc_fwd_len1300_factors_10_10_13_wgs_130_tpt_130_sp_op_CI_CI_unitstride_sbrr_C2R_dirReg,@function
fft_rtc_fwd_len1300_factors_10_10_13_wgs_130_tpt_130_sp_op_CI_CI_unitstride_sbrr_C2R_dirReg: ; @fft_rtc_fwd_len1300_factors_10_10_13_wgs_130_tpt_130_sp_op_CI_CI_unitstride_sbrr_C2R_dirReg
; %bb.0:
	s_load_dwordx4 s[4:7], s[0:1], 0x58
	s_load_dwordx4 s[8:11], s[0:1], 0x0
	;; [unrolled: 1-line block ×3, first 2 shown]
	v_mul_u32_u24_e32 v1, 0x1f9, v0
	v_add_u32_sdwa v6, s2, v1 dst_sel:DWORD dst_unused:UNUSED_PAD src0_sel:DWORD src1_sel:WORD_1
	v_mov_b32_e32 v4, 0
	s_waitcnt lgkmcnt(0)
	v_cmp_lt_u64_e64 s[2:3], s[10:11], 2
	v_mov_b32_e32 v7, v4
	s_and_b64 vcc, exec, s[2:3]
	v_mov_b64_e32 v[2:3], 0
	s_cbranch_vccnz .LBB0_8
; %bb.1:
	s_load_dwordx2 s[2:3], s[0:1], 0x10
	s_add_u32 s16, s14, 8
	s_addc_u32 s17, s15, 0
	s_add_u32 s18, s12, 8
	s_addc_u32 s19, s13, 0
	s_waitcnt lgkmcnt(0)
	s_add_u32 s20, s2, 8
	v_mov_b64_e32 v[2:3], 0
	s_addc_u32 s21, s3, 0
	s_mov_b64 s[22:23], 1
	v_mov_b64_e32 v[24:25], v[2:3]
.LBB0_2:                                ; =>This Inner Loop Header: Depth=1
	s_load_dwordx2 s[24:25], s[20:21], 0x0
                                        ; implicit-def: $vgpr26_vgpr27
	s_waitcnt lgkmcnt(0)
	v_or_b32_e32 v5, s25, v7
	v_cmp_ne_u64_e32 vcc, 0, v[4:5]
	s_and_saveexec_b64 s[2:3], vcc
	s_xor_b64 s[26:27], exec, s[2:3]
	s_cbranch_execz .LBB0_4
; %bb.3:                                ;   in Loop: Header=BB0_2 Depth=1
	v_cvt_f32_u32_e32 v1, s24
	v_cvt_f32_u32_e32 v5, s25
	s_sub_u32 s2, 0, s24
	s_subb_u32 s3, 0, s25
	v_fmac_f32_e32 v1, 0x4f800000, v5
	v_rcp_f32_e32 v1, v1
	s_nop 0
	v_mul_f32_e32 v1, 0x5f7ffffc, v1
	v_mul_f32_e32 v5, 0x2f800000, v1
	v_trunc_f32_e32 v5, v5
	v_fmac_f32_e32 v1, 0xcf800000, v5
	v_cvt_u32_f32_e32 v5, v5
	v_cvt_u32_f32_e32 v1, v1
	v_mul_lo_u32 v8, s2, v5
	v_mul_hi_u32 v10, s2, v1
	v_mul_lo_u32 v9, s3, v1
	v_add_u32_e32 v10, v10, v8
	v_mul_lo_u32 v12, s2, v1
	v_add_u32_e32 v13, v10, v9
	v_mul_hi_u32 v8, v1, v12
	v_mul_hi_u32 v11, v1, v13
	v_mul_lo_u32 v10, v1, v13
	v_mov_b32_e32 v9, v4
	v_lshl_add_u64 v[8:9], v[8:9], 0, v[10:11]
	v_mul_hi_u32 v11, v5, v12
	v_mul_lo_u32 v12, v5, v12
	v_add_co_u32_e32 v8, vcc, v8, v12
	v_mul_hi_u32 v10, v5, v13
	s_nop 0
	v_addc_co_u32_e32 v8, vcc, v9, v11, vcc
	v_mov_b32_e32 v9, v4
	s_nop 0
	v_addc_co_u32_e32 v11, vcc, 0, v10, vcc
	v_mul_lo_u32 v10, v5, v13
	v_lshl_add_u64 v[8:9], v[8:9], 0, v[10:11]
	v_add_co_u32_e32 v1, vcc, v1, v8
	v_mul_lo_u32 v10, s2, v1
	s_nop 0
	v_addc_co_u32_e32 v5, vcc, v5, v9, vcc
	v_mul_lo_u32 v8, s2, v5
	v_mul_hi_u32 v9, s2, v1
	v_add_u32_e32 v8, v9, v8
	v_mul_lo_u32 v9, s3, v1
	v_add_u32_e32 v12, v8, v9
	v_mul_hi_u32 v14, v5, v10
	v_mul_lo_u32 v15, v5, v10
	v_mul_hi_u32 v9, v1, v12
	v_mul_lo_u32 v8, v1, v12
	v_mul_hi_u32 v10, v1, v10
	v_mov_b32_e32 v11, v4
	v_lshl_add_u64 v[8:9], v[10:11], 0, v[8:9]
	v_add_co_u32_e32 v8, vcc, v8, v15
	v_mul_hi_u32 v13, v5, v12
	s_nop 0
	v_addc_co_u32_e32 v8, vcc, v9, v14, vcc
	v_mul_lo_u32 v10, v5, v12
	s_nop 0
	v_addc_co_u32_e32 v11, vcc, 0, v13, vcc
	v_mov_b32_e32 v9, v4
	v_lshl_add_u64 v[8:9], v[8:9], 0, v[10:11]
	v_add_co_u32_e32 v1, vcc, v1, v8
	v_mul_hi_u32 v10, v6, v1
	s_nop 0
	v_addc_co_u32_e32 v5, vcc, v5, v9, vcc
	v_mad_u64_u32 v[8:9], s[2:3], v6, v5, 0
	v_mov_b32_e32 v11, v4
	v_lshl_add_u64 v[8:9], v[10:11], 0, v[8:9]
	v_mad_u64_u32 v[12:13], s[2:3], v7, v1, 0
	v_add_co_u32_e32 v1, vcc, v8, v12
	v_mad_u64_u32 v[10:11], s[2:3], v7, v5, 0
	s_nop 0
	v_addc_co_u32_e32 v8, vcc, v9, v13, vcc
	v_mov_b32_e32 v9, v4
	s_nop 0
	v_addc_co_u32_e32 v11, vcc, 0, v11, vcc
	v_lshl_add_u64 v[8:9], v[8:9], 0, v[10:11]
	v_mul_lo_u32 v1, s25, v8
	v_mul_lo_u32 v5, s24, v9
	v_mad_u64_u32 v[10:11], s[2:3], s24, v8, 0
	v_add3_u32 v1, v11, v5, v1
	v_sub_u32_e32 v5, v7, v1
	v_mov_b32_e32 v11, s25
	v_sub_co_u32_e32 v14, vcc, v6, v10
	v_lshl_add_u64 v[12:13], v[8:9], 0, 1
	s_nop 0
	v_subb_co_u32_e64 v5, s[2:3], v5, v11, vcc
	v_subrev_co_u32_e64 v10, s[2:3], s24, v14
	v_subb_co_u32_e32 v1, vcc, v7, v1, vcc
	s_nop 0
	v_subbrev_co_u32_e64 v5, s[2:3], 0, v5, s[2:3]
	v_cmp_le_u32_e64 s[2:3], s25, v5
	v_cmp_le_u32_e32 vcc, s25, v1
	s_nop 0
	v_cndmask_b32_e64 v11, 0, -1, s[2:3]
	v_cmp_le_u32_e64 s[2:3], s24, v10
	s_nop 1
	v_cndmask_b32_e64 v10, 0, -1, s[2:3]
	v_cmp_eq_u32_e64 s[2:3], s25, v5
	s_nop 1
	v_cndmask_b32_e64 v5, v11, v10, s[2:3]
	v_lshl_add_u64 v[10:11], v[8:9], 0, 2
	v_cmp_ne_u32_e64 s[2:3], 0, v5
	s_nop 1
	v_cndmask_b32_e64 v5, v13, v11, s[2:3]
	v_cndmask_b32_e64 v11, 0, -1, vcc
	v_cmp_le_u32_e32 vcc, s24, v14
	s_nop 1
	v_cndmask_b32_e64 v13, 0, -1, vcc
	v_cmp_eq_u32_e32 vcc, s25, v1
	s_nop 1
	v_cndmask_b32_e32 v1, v11, v13, vcc
	v_cmp_ne_u32_e32 vcc, 0, v1
	v_cndmask_b32_e64 v1, v12, v10, s[2:3]
	s_nop 0
	v_cndmask_b32_e32 v27, v9, v5, vcc
	v_cndmask_b32_e32 v26, v8, v1, vcc
.LBB0_4:                                ;   in Loop: Header=BB0_2 Depth=1
	s_andn2_saveexec_b64 s[2:3], s[26:27]
	s_cbranch_execz .LBB0_6
; %bb.5:                                ;   in Loop: Header=BB0_2 Depth=1
	v_cvt_f32_u32_e32 v1, s24
	s_sub_i32 s26, 0, s24
	v_mov_b32_e32 v27, v4
	v_rcp_iflag_f32_e32 v1, v1
	s_nop 0
	v_mul_f32_e32 v1, 0x4f7ffffe, v1
	v_cvt_u32_f32_e32 v1, v1
	v_mul_lo_u32 v5, s26, v1
	v_mul_hi_u32 v5, v1, v5
	v_add_u32_e32 v1, v1, v5
	v_mul_hi_u32 v1, v6, v1
	v_mul_lo_u32 v5, v1, s24
	v_sub_u32_e32 v5, v6, v5
	v_add_u32_e32 v8, 1, v1
	v_subrev_u32_e32 v9, s24, v5
	v_cmp_le_u32_e32 vcc, s24, v5
	s_nop 1
	v_cndmask_b32_e32 v5, v5, v9, vcc
	v_cndmask_b32_e32 v1, v1, v8, vcc
	v_add_u32_e32 v8, 1, v1
	v_cmp_le_u32_e32 vcc, s24, v5
	s_nop 1
	v_cndmask_b32_e32 v26, v1, v8, vcc
.LBB0_6:                                ;   in Loop: Header=BB0_2 Depth=1
	s_or_b64 exec, exec, s[2:3]
	v_mad_u64_u32 v[8:9], s[2:3], v26, s24, 0
	s_load_dwordx2 s[2:3], s[18:19], 0x0
	v_mul_lo_u32 v1, v27, s24
	v_mul_lo_u32 v5, v26, s25
	s_load_dwordx2 s[24:25], s[16:17], 0x0
	s_add_u32 s22, s22, 1
	v_add3_u32 v1, v9, v5, v1
	v_sub_co_u32_e32 v5, vcc, v6, v8
	s_addc_u32 s23, s23, 0
	s_nop 0
	v_subb_co_u32_e32 v1, vcc, v7, v1, vcc
	s_add_u32 s16, s16, 8
	s_waitcnt lgkmcnt(0)
	v_mul_lo_u32 v6, s2, v1
	v_mul_lo_u32 v7, s3, v5
	v_mad_u64_u32 v[2:3], s[2:3], s2, v5, v[2:3]
	s_addc_u32 s17, s17, 0
	v_add3_u32 v3, v7, v3, v6
	v_mul_lo_u32 v1, s24, v1
	v_mul_lo_u32 v6, s25, v5
	v_mad_u64_u32 v[24:25], s[2:3], s24, v5, v[24:25]
	s_add_u32 s18, s18, 8
	v_add3_u32 v25, v6, v25, v1
	s_addc_u32 s19, s19, 0
	v_mov_b64_e32 v[6:7], s[10:11]
	s_add_u32 s20, s20, 8
	v_cmp_ge_u64_e32 vcc, s[22:23], v[6:7]
	s_addc_u32 s21, s21, 0
	s_cbranch_vccnz .LBB0_9
; %bb.7:                                ;   in Loop: Header=BB0_2 Depth=1
	v_mov_b64_e32 v[6:7], v[26:27]
	s_branch .LBB0_2
.LBB0_8:
	v_mov_b64_e32 v[24:25], v[2:3]
	v_mov_b64_e32 v[26:27], v[6:7]
.LBB0_9:
	s_load_dwordx2 s[18:19], s[0:1], 0x28
	s_lshl_b64 s[16:17], s[10:11], 3
	s_add_u32 s2, s14, s16
	s_addc_u32 s3, s15, s17
                                        ; implicit-def: $vgpr28
	s_waitcnt lgkmcnt(0)
	v_cmp_gt_u64_e64 s[0:1], s[18:19], v[26:27]
	v_cmp_le_u64_e32 vcc, s[18:19], v[26:27]
	s_and_saveexec_b64 s[10:11], vcc
	s_xor_b64 s[10:11], exec, s[10:11]
; %bb.10:
	s_mov_b32 s14, 0x1f81f82
	v_mul_hi_u32 v1, v0, s14
	v_mul_u32_u24_e32 v1, 0x82, v1
	v_sub_u32_e32 v28, v0, v1
                                        ; implicit-def: $vgpr0
                                        ; implicit-def: $vgpr2_vgpr3
; %bb.11:
	s_or_saveexec_b64 s[10:11], s[10:11]
	s_load_dwordx2 s[2:3], s[2:3], 0x0
	s_xor_b64 exec, exec, s[10:11]
	s_cbranch_execz .LBB0_15
; %bb.12:
	s_add_u32 s12, s12, s16
	s_addc_u32 s13, s13, s17
	s_load_dwordx2 s[12:13], s[12:13], 0x0
	s_mov_b32 s14, 0x1f81f82
	s_waitcnt lgkmcnt(0)
	v_mul_lo_u32 v1, s13, v26
	v_mul_lo_u32 v6, s12, v27
	v_mad_u64_u32 v[4:5], s[12:13], s12, v26, 0
	v_add3_u32 v5, v5, v6, v1
	v_mul_hi_u32 v1, v0, s14
	v_mul_u32_u24_e32 v1, 0x82, v1
	v_sub_u32_e32 v28, v0, v1
	v_lshl_add_u64 v[0:1], v[4:5], 3, s[4:5]
	v_lshl_add_u64 v[2:3], v[2:3], 3, v[0:1]
	v_lshlrev_b32_e32 v0, 3, v28
	v_mov_b32_e32 v1, 0
	v_lshl_add_u64 v[4:5], v[2:3], 0, v[0:1]
	s_movk_i32 s4, 0x1000
	v_add_co_u32_e32 v14, vcc, s4, v4
	global_load_dwordx2 v[6:7], v[4:5], off
	global_load_dwordx2 v[8:9], v[4:5], off offset:1040
	global_load_dwordx2 v[10:11], v[4:5], off offset:2080
	;; [unrolled: 1-line block ×3, first 2 shown]
	v_addc_co_u32_e32 v15, vcc, 0, v5, vcc
	v_add_co_u32_e32 v4, vcc, 0x2000, v4
	global_load_dwordx2 v[16:17], v[14:15], off offset:64
	global_load_dwordx2 v[18:19], v[14:15], off offset:1104
	;; [unrolled: 1-line block ×4, first 2 shown]
	v_addc_co_u32_e32 v5, vcc, 0, v5, vcc
	global_load_dwordx2 v[14:15], v[4:5], off offset:128
	global_load_dwordx2 v[30:31], v[4:5], off offset:1168
	s_movk_i32 s4, 0x81
	v_add_u32_e32 v0, 0, v0
	v_cmp_eq_u32_e32 vcc, s4, v28
	v_add_u32_e32 v4, 0x800, v0
	v_add_u32_e32 v5, 0x1000, v0
	;; [unrolled: 1-line block ×4, first 2 shown]
	s_waitcnt vmcnt(8)
	ds_write2_b64 v0, v[6:7], v[8:9] offset1:130
	s_waitcnt vmcnt(6)
	ds_write2_b64 v4, v[10:11], v[12:13] offset0:4 offset1:134
	s_waitcnt vmcnt(4)
	ds_write2_b64 v5, v[16:17], v[18:19] offset0:8 offset1:138
	;; [unrolled: 2-line block ×4, first 2 shown]
	s_and_saveexec_b64 s[4:5], vcc
	s_cbranch_execz .LBB0_14
; %bb.13:
	v_add_co_u32_e32 v2, vcc, 0x2000, v2
	v_mov_b32_e32 v28, 0x81
	s_nop 0
	v_addc_co_u32_e32 v3, vcc, 0, v3, vcc
	global_load_dwordx2 v[2:3], v[2:3], off offset:2208
	s_waitcnt vmcnt(0)
	ds_write_b64 v1, v[2:3] offset:10400
.LBB0_14:
	s_or_b64 exec, exec, s[4:5]
.LBB0_15:
	s_or_b64 exec, exec, s[10:11]
	v_lshlrev_b32_e32 v0, 3, v28
	v_add_u32_e32 v122, 0, v0
	s_waitcnt lgkmcnt(0)
	s_barrier
	v_sub_u32_e32 v4, 0, v0
	ds_read_b32 v1, v122
	ds_read_b32 v2, v4 offset:10400
	s_add_u32 s4, s8, 0x2850
	s_addc_u32 s5, s9, 0
	v_cmp_ne_u32_e32 vcc, 0, v28
	s_waitcnt lgkmcnt(0)
	v_add_f32_e32 v0, v2, v1
	v_sub_f32_e32 v1, v1, v2
                                        ; implicit-def: $vgpr2_vgpr3
	s_and_saveexec_b64 s[10:11], vcc
	s_xor_b64 s[10:11], exec, s[10:11]
	s_cbranch_execz .LBB0_17
; %bb.16:
	v_mov_b32_e32 v29, 0
	v_lshl_add_u64 v[2:3], v[28:29], 3, s[4:5]
	global_load_dwordx2 v[6:7], v[2:3], off
	ds_read_b32 v5, v4 offset:10404
	ds_read_b32 v11, v122 offset:4
	v_mov_b32_e32 v8, v1
	v_mov_b32_e32 v10, v0
	;; [unrolled: 1-line block ×3, first 2 shown]
	v_mov_b64_e32 v[2:3], v[28:29]
	s_waitcnt lgkmcnt(0)
	v_add_f32_e32 v9, v5, v11
	v_sub_f32_e32 v11, v11, v5
	v_mov_b32_e32 v12, v9
	s_waitcnt vmcnt(0)
	v_pk_mul_f32 v[14:15], v[8:9], v[6:7] op_sel:[0,1]
	v_pk_fma_f32 v[8:9], v[8:9], v[6:7], v[10:11] op_sel:[0,1,0]
	v_mov_b32_e32 v1, v15
	v_mov_b32_e32 v15, v11
	v_pk_fma_f32 v[16:17], v[6:7], v[12:13], v[8:9] neg_lo:[1,0,0] neg_hi:[1,0,0]
	v_pk_fma_f32 v[8:9], v[6:7], v[12:13], v[8:9] op_sel_hi:[0,1,1]
	v_pk_add_f32 v[0:1], v[0:1], v[14:15] neg_lo:[0,1] neg_hi:[0,1]
	v_mov_b32_e32 v17, v9
	v_pk_fma_f32 v[0:1], v[6:7], v[12:13], v[0:1] op_sel_hi:[0,1,1]
	ds_write_b64 v4, v[0:1] offset:10400
	v_mov_b64_e32 v[0:1], v[16:17]
.LBB0_17:
	s_andn2_saveexec_b64 s[10:11], s[10:11]
	s_cbranch_execz .LBB0_19
; %bb.18:
	v_mov_b32_e32 v5, 0
	ds_read_b64 v[2:3], v5 offset:5200
	s_mov_b32 s12, 2.0
	s_mov_b32 s13, -2.0
	s_waitcnt lgkmcnt(0)
	v_pk_mul_f32 v[2:3], v[2:3], s[12:13]
	ds_write_b64 v5, v[2:3] offset:5200
	v_mov_b64_e32 v[2:3], 0
.LBB0_19:
	s_or_b64 exec, exec, s[10:11]
	v_lshl_add_u64 v[2:3], v[2:3], 3, s[4:5]
	global_load_dwordx2 v[6:7], v[2:3], off offset:1040
	global_load_dwordx2 v[8:9], v[2:3], off offset:2080
	;; [unrolled: 1-line block ×3, first 2 shown]
	s_movk_i32 s4, 0x1000
	v_add_co_u32_e32 v2, vcc, s4, v2
	ds_write_b64 v122, v[0:1]
	s_nop 0
	v_addc_co_u32_e32 v3, vcc, 0, v3, vcc
	global_load_dwordx2 v[2:3], v[2:3], off offset:64
	ds_read_b64 v[0:1], v4 offset:9360
	ds_read_b64 v[12:13], v122 offset:1040
	v_add_u32_e32 v23, 0x800, v122
	v_add_u32_e32 v21, 0x1000, v122
	;; [unrolled: 1-line block ×4, first 2 shown]
	s_waitcnt lgkmcnt(0)
	v_pk_add_f32 v[14:15], v[12:13], v[0:1]
	v_pk_add_f32 v[0:1], v[12:13], v[0:1] neg_lo:[0,1] neg_hi:[0,1]
	v_mov_b32_e32 v12, v15
	v_mov_b32_e32 v13, v0
	;; [unrolled: 1-line block ×3, first 2 shown]
	s_movk_i32 s5, 0x48
	s_mov_b32 s4, 0x3f737871
	s_mov_b32 s12, 0x3f167918
	;; [unrolled: 1-line block ×5, first 2 shown]
	v_mad_u32_u24 v29, v28, s5, v122
	s_mov_b32 s18, 0x3f4f1bbd
	s_mov_b32 s16, 0xbf167918
	;; [unrolled: 1-line block ×3, first 2 shown]
	s_waitcnt vmcnt(3)
	v_pk_mul_f32 v[16:17], v[12:13], v[6:7] op_sel:[0,1]
	s_nop 0
	v_pk_add_f32 v[18:19], v[14:15], v[16:17] op_sel:[0,1] op_sel_hi:[1,0]
	v_mov_b32_e32 v15, v16
	v_mov_b32_e32 v0, v17
	v_pk_fma_f32 v[16:17], v[6:7], v[12:13], v[18:19] neg_lo:[1,0,0] neg_hi:[1,0,0]
	v_pk_fma_f32 v[18:19], v[6:7], v[12:13], v[18:19] op_sel_hi:[0,1,1]
	v_pk_add_f32 v[0:1], v[14:15], v[0:1] neg_lo:[0,1] neg_hi:[0,1]
	v_mov_b32_e32 v17, v19
	v_pk_fma_f32 v[0:1], v[6:7], v[12:13], v[0:1] op_sel_hi:[0,1,1]
	ds_write_b64 v122, v[16:17] offset:1040
	ds_write_b64 v4, v[0:1] offset:9360
	ds_read_b64 v[0:1], v4 offset:8320
	ds_read_b64 v[6:7], v122 offset:2080
	s_waitcnt lgkmcnt(0)
	v_pk_add_f32 v[12:13], v[6:7], v[0:1]
	v_pk_add_f32 v[0:1], v[6:7], v[0:1] neg_lo:[0,1] neg_hi:[0,1]
	v_mov_b32_e32 v6, v13
	v_mov_b32_e32 v7, v0
	v_mov_b32_e32 v13, v1
	s_waitcnt vmcnt(2)
	v_pk_mul_f32 v[14:15], v[6:7], v[8:9] op_sel:[0,1]
	s_nop 0
	v_pk_add_f32 v[16:17], v[12:13], v[14:15] op_sel:[0,1] op_sel_hi:[1,0]
	v_mov_b32_e32 v13, v14
	v_mov_b32_e32 v0, v15
	v_pk_fma_f32 v[14:15], v[8:9], v[6:7], v[16:17] neg_lo:[1,0,0] neg_hi:[1,0,0]
	v_pk_fma_f32 v[16:17], v[8:9], v[6:7], v[16:17] op_sel_hi:[0,1,1]
	v_pk_add_f32 v[0:1], v[12:13], v[0:1] neg_lo:[0,1] neg_hi:[0,1]
	v_mov_b32_e32 v15, v17
	v_pk_fma_f32 v[0:1], v[8:9], v[6:7], v[0:1] op_sel_hi:[0,1,1]
	ds_write_b64 v122, v[14:15] offset:2080
	ds_write_b64 v4, v[0:1] offset:8320
	ds_read_b64 v[0:1], v4 offset:7280
	ds_read_b64 v[6:7], v122 offset:3120
	s_waitcnt lgkmcnt(0)
	v_pk_add_f32 v[8:9], v[6:7], v[0:1]
	v_pk_add_f32 v[0:1], v[6:7], v[0:1] neg_lo:[0,1] neg_hi:[0,1]
	v_mov_b32_e32 v6, v9
	v_mov_b32_e32 v7, v0
	v_mov_b32_e32 v9, v1
	;; [unrolled: 21-line block ×3, first 2 shown]
	s_waitcnt vmcnt(0)
	v_pk_mul_f32 v[10:11], v[6:7], v[2:3] op_sel:[0,1]
	s_nop 0
	v_pk_add_f32 v[12:13], v[8:9], v[10:11] op_sel:[0,1] op_sel_hi:[1,0]
	v_mov_b32_e32 v9, v10
	v_mov_b32_e32 v0, v11
	v_pk_fma_f32 v[10:11], v[2:3], v[6:7], v[12:13] neg_lo:[1,0,0] neg_hi:[1,0,0]
	v_pk_fma_f32 v[12:13], v[2:3], v[6:7], v[12:13] op_sel_hi:[0,1,1]
	v_pk_add_f32 v[0:1], v[8:9], v[0:1] neg_lo:[0,1] neg_hi:[0,1]
	v_mov_b32_e32 v11, v13
	v_pk_fma_f32 v[0:1], v[2:3], v[6:7], v[0:1] op_sel_hi:[0,1,1]
	ds_write_b64 v122, v[10:11] offset:4160
	ds_write_b64 v4, v[0:1] offset:6240
	s_waitcnt lgkmcnt(0)
	s_barrier
	s_barrier
	ds_read2_b64 v[0:3], v122 offset1:130
	ds_read2_b64 v[4:7], v23 offset0:4 offset1:134
	ds_read2_b64 v[8:11], v21 offset0:8 offset1:138
	;; [unrolled: 1-line block ×4, first 2 shown]
	s_waitcnt lgkmcnt(0)
	v_pk_add_f32 v[30:31], v[0:1], v[4:5]
	v_pk_add_f32 v[32:33], v[2:3], v[6:7]
	;; [unrolled: 1-line block ×3, first 2 shown]
	v_pk_add_f32 v[36:37], v[4:5], v[16:17] neg_lo:[0,1] neg_hi:[0,1]
	v_pk_add_f32 v[38:39], v[8:9], v[12:13] neg_lo:[0,1] neg_hi:[0,1]
	;; [unrolled: 1-line block ×4, first 2 shown]
	v_pk_add_f32 v[8:9], v[30:31], v[8:9]
	v_pk_add_f32 v[30:31], v[32:33], v[10:11]
	v_pk_fma_f32 v[32:33], v[34:35], 0.5, v[0:1] op_sel_hi:[1,0,1] neg_lo:[1,0,0] neg_hi:[1,0,0]
	v_pk_mul_f32 v[34:35], v[36:37], s[4:5] op_sel_hi:[1,0]
	v_pk_add_f32 v[42:43], v[16:17], v[12:13] neg_lo:[0,1] neg_hi:[0,1]
	v_pk_add_f32 v[46:47], v[12:13], v[16:17] neg_lo:[0,1] neg_hi:[0,1]
	;; [unrolled: 1-line block ×3, first 2 shown]
	v_pk_add_f32 v[52:53], v[6:7], v[18:19]
	v_pk_mul_f32 v[54:55], v[38:39], s[12:13] op_sel_hi:[1,0]
	v_pk_add_f32 v[8:9], v[8:9], v[12:13]
	v_pk_add_f32 v[12:13], v[30:31], v[14:15]
	v_pk_add_f32 v[30:31], v[32:33], v[34:35] op_sel:[0,1] op_sel_hi:[1,0]
	v_pk_add_f32 v[32:33], v[32:33], v[34:35] op_sel:[0,1] op_sel_hi:[1,0] neg_lo:[0,1] neg_hi:[0,1]
	v_pk_add_f32 v[48:49], v[6:7], v[18:19] neg_lo:[0,1] neg_hi:[0,1]
	v_pk_add_f32 v[40:41], v[40:41], v[42:43]
	v_pk_add_f32 v[42:43], v[44:45], v[46:47]
	v_pk_add_f32 v[32:33], v[32:33], v[54:55] op_sel:[0,1] op_sel_hi:[1,0] neg_lo:[0,1] neg_hi:[0,1]
	v_pk_add_f32 v[30:31], v[30:31], v[54:55] op_sel:[0,1] op_sel_hi:[1,0]
	v_pk_fma_f32 v[34:35], v[52:53], 0.5, v[2:3] op_sel_hi:[1,0,1] neg_lo:[1,0,0] neg_hi:[1,0,0]
	v_pk_mul_f32 v[44:45], v[50:51], s[4:5] op_sel_hi:[1,0]
	v_pk_add_f32 v[52:53], v[10:11], v[6:7] neg_lo:[0,1] neg_hi:[0,1]
	v_pk_add_f32 v[54:55], v[14:15], v[18:19] neg_lo:[0,1] neg_hi:[0,1]
	v_pk_mul_f32 v[46:47], v[48:49], s[12:13] op_sel_hi:[1,0]
	v_pk_add_f32 v[52:53], v[52:53], v[54:55]
	v_pk_add_f32 v[54:55], v[34:35], v[44:45] op_sel:[0,1] op_sel_hi:[1,0] neg_lo:[0,1] neg_hi:[0,1]
	v_pk_add_f32 v[34:35], v[34:35], v[44:45] op_sel:[0,1] op_sel_hi:[1,0]
	v_pk_add_f32 v[44:45], v[54:55], v[46:47] op_sel:[0,1] op_sel_hi:[1,0]
	v_pk_add_f32 v[34:35], v[34:35], v[46:47] op_sel:[0,1] op_sel_hi:[1,0] neg_lo:[0,1] neg_hi:[0,1]
	v_pk_add_f32 v[4:5], v[4:5], v[16:17]
	v_mov_b32_e32 v46, v44
	v_mov_b32_e32 v47, v35
	v_pk_fma_f32 v[0:1], v[4:5], 0.5, v[0:1] op_sel_hi:[1,0,1] neg_lo:[1,0,0] neg_hi:[1,0,0]
	v_pk_mul_f32 v[4:5], v[38:39], s[4:5] op_sel_hi:[1,0]
	v_pk_add_f32 v[8:9], v[8:9], v[16:17]
	v_pk_fma_f32 v[46:47], v[52:53], s[10:11], v[46:47] op_sel_hi:[1,0,1]
	v_pk_add_f32 v[16:17], v[0:1], v[4:5] op_sel:[0,1] op_sel_hi:[1,0] neg_lo:[0,1] neg_hi:[0,1]
	v_pk_add_f32 v[0:1], v[0:1], v[4:5] op_sel:[0,1] op_sel_hi:[1,0]
	v_pk_mul_f32 v[36:37], v[36:37], s[12:13] op_sel_hi:[1,0]
	v_mov_b32_e32 v35, v45
	v_pk_mul_f32 v[54:55], v[46:47], s[4:5] op_sel_hi:[1,0]
	v_pk_add_f32 v[0:1], v[0:1], v[36:37] op_sel:[0,1] op_sel_hi:[1,0] neg_lo:[0,1] neg_hi:[0,1]
	v_pk_add_f32 v[16:17], v[16:17], v[36:37] op_sel:[0,1] op_sel_hi:[1,0]
	v_pk_fma_f32 v[34:35], v[52:53], s[10:11], v[34:35] op_sel_hi:[1,0,1]
	v_pk_fma_f32 v[56:57], v[46:47], s[10:11], v[54:55] op_sel:[0,0,1] op_sel_hi:[1,0,0]
	v_pk_fma_f32 v[46:47], v[46:47], s[10:11], v[54:55] op_sel:[0,0,1] op_sel_hi:[1,0,0] neg_lo:[0,0,1] neg_hi:[0,0,1]
	v_mov_b32_e32 v38, v16
	v_mov_b32_e32 v39, v1
	v_pk_mul_f32 v[44:45], v[34:35], s[10:11] op_sel_hi:[1,0]
	v_mov_b32_e32 v1, v17
	v_mov_b32_e32 v57, v47
	v_pk_fma_f32 v[38:39], v[42:43], s[10:11], v[38:39] op_sel_hi:[1,0,1]
	v_pk_fma_f32 v[34:35], v[34:35], s[14:15], v[44:45] op_sel:[0,0,1] op_sel_hi:[1,1,0] neg_lo:[0,0,1] neg_hi:[0,0,1]
	v_pk_fma_f32 v[0:1], v[42:43], s[10:11], v[0:1] op_sel_hi:[1,0,1]
	v_pk_add_f32 v[44:45], v[38:39], v[56:57]
	v_pk_add_f32 v[16:17], v[0:1], v[34:35] op_sel:[0,1] op_sel_hi:[1,0]
	s_barrier
	ds_write2_b64 v29, v[44:45], v[16:17] offset0:2 offset1:3
	v_pk_add_f32 v[16:17], v[10:11], v[14:15]
	v_pk_add_f32 v[6:7], v[6:7], v[10:11] neg_lo:[0,1] neg_hi:[0,1]
	v_pk_fma_f32 v[2:3], v[16:17], 0.5, v[2:3] op_sel_hi:[1,0,1] neg_lo:[1,0,0] neg_hi:[1,0,0]
	v_pk_add_f32 v[10:11], v[18:19], v[14:15] neg_lo:[0,1] neg_hi:[0,1]
	v_pk_mul_f32 v[14:15], v[48:49], s[4:5] op_sel_hi:[1,0]
	v_pk_add_f32 v[12:13], v[12:13], v[18:19]
	v_pk_add_f32 v[16:17], v[2:3], v[14:15] op_sel:[0,1] op_sel_hi:[1,0]
	v_pk_mul_f32 v[18:19], v[50:51], s[12:13] op_sel_hi:[1,0]
	v_pk_add_f32 v[2:3], v[2:3], v[14:15] op_sel:[0,1] op_sel_hi:[1,0] neg_lo:[0,1] neg_hi:[0,1]
	v_pk_add_f32 v[6:7], v[6:7], v[10:11]
	v_pk_add_f32 v[16:17], v[18:19], v[16:17] op_sel:[1,0] op_sel_hi:[0,1]
	v_pk_add_f32 v[2:3], v[2:3], v[18:19] op_sel:[0,1] op_sel_hi:[1,0] neg_lo:[0,1] neg_hi:[0,1]
	v_mov_b32_e32 v36, v30
	v_pk_fma_f32 v[14:15], v[6:7], s[10:11], v[2:3] op_sel_hi:[1,0,1]
	v_mov_b32_e32 v3, v17
	v_pk_fma_f32 v[2:3], v[6:7], s[10:11], v[2:3] op_sel_hi:[1,0,1]
	v_mov_b32_e32 v37, v33
	v_mov_b32_e32 v33, v31
	v_pk_fma_f32 v[30:31], v[6:7], s[10:11], v[16:17] op_sel_hi:[1,0,1]
	v_pk_mul_f32 v[6:7], v[2:3], s[18:19] op_sel_hi:[1,0]
	s_mov_b32 s19, s12
	v_pk_fma_f32 v[2:3], v[2:3], s[16:17], v[6:7] op_sel:[0,0,1] op_sel_hi:[1,1,0] neg_lo:[0,0,1] neg_hi:[0,0,1]
	v_pk_mul_f32 v[6:7], v[30:31], s[18:19] op_sel_hi:[0,1]
	s_mov_b32 s13, s18
	v_pk_fma_f32 v[16:17], v[14:15], s[12:13], v[6:7] op_sel:[1,0,0]
	v_pk_fma_f32 v[6:7], v[14:15], s[12:13], v[6:7] op_sel:[1,0,0] neg_lo:[0,0,1] neg_hi:[0,0,1]
	v_pk_fma_f32 v[36:37], v[40:41], s[10:11], v[36:37] op_sel_hi:[1,0,1]
	v_pk_fma_f32 v[10:11], v[40:41], s[10:11], v[32:33] op_sel_hi:[1,0,1]
	v_mov_b32_e32 v17, v7
	v_pk_add_f32 v[4:5], v[8:9], v[12:13]
	v_pk_add_f32 v[6:7], v[36:37], v[16:17]
	v_pk_add_f32 v[14:15], v[10:11], v[2:3] op_sel:[1,0] op_sel_hi:[0,1]
	ds_write2_b64 v29, v[4:5], v[6:7] offset1:1
	v_pk_add_f32 v[4:5], v[8:9], v[12:13] neg_lo:[0,1] neg_hi:[0,1]
	v_mov_b32_e32 v6, v15
	v_mov_b32_e32 v7, v14
	ds_write2_b64 v29, v[6:7], v[4:5] offset0:4 offset1:5
	v_pk_add_f32 v[4:5], v[36:37], v[16:17] neg_lo:[0,1] neg_hi:[0,1]
	v_pk_add_f32 v[6:7], v[38:39], v[56:57] neg_lo:[0,1] neg_hi:[0,1]
	v_pk_add_f32 v[2:3], v[10:11], v[2:3] op_sel:[1,0] op_sel_hi:[0,1] neg_lo:[0,1] neg_hi:[0,1]
	ds_write2_b64 v29, v[4:5], v[6:7] offset0:6 offset1:7
	v_pk_add_f32 v[0:1], v[0:1], v[34:35] op_sel:[0,1] op_sel_hi:[1,0] neg_lo:[0,1] neg_hi:[0,1]
	v_mov_b32_e32 v4, v3
	v_mov_b32_e32 v5, v2
	s_movk_i32 s5, 0xcd
	ds_write2_b64 v29, v[0:1], v[4:5] offset0:8 offset1:9
	v_mul_lo_u16_sdwa v0, v28, s5 dst_sel:DWORD dst_unused:UNUSED_PAD src0_sel:BYTE_0 src1_sel:DWORD
	v_lshrrev_b16_e32 v29, 11, v0
	v_mul_lo_u16_e32 v0, 10, v29
	v_sub_u16_e32 v62, v28, v0
	v_mov_b32_e32 v0, 9
	v_mul_u32_u24_sdwa v0, v62, v0 dst_sel:DWORD dst_unused:UNUSED_PAD src0_sel:BYTE_0 src1_sel:DWORD
	v_lshlrev_b32_e32 v16, 3, v0
	s_waitcnt lgkmcnt(0)
	s_barrier
	global_load_dwordx4 v[0:3], v16, s[8:9] offset:48
	global_load_dwordx2 v[42:43], v16, s[8:9] offset:64
	global_load_dwordx4 v[4:7], v16, s[8:9]
	global_load_dwordx4 v[8:11], v16, s[8:9] offset:16
	global_load_dwordx4 v[12:15], v16, s[8:9] offset:32
	ds_read2_b64 v[16:19], v22 offset0:16 offset1:146
	ds_read2_b64 v[30:33], v122 offset1:130
	ds_read2_b64 v[34:37], v23 offset0:4 offset1:134
	ds_read2_b64 v[38:41], v21 offset0:8 offset1:138
	s_waitcnt vmcnt(4)
	v_mov_b32_e32 v22, v3
	s_waitcnt lgkmcnt(3)
	v_pk_mul_f32 v[44:45], v[16:17], v[22:23] op_sel_hi:[1,0]
	s_waitcnt vmcnt(0)
	v_mov_b32_e32 v22, v15
	v_pk_fma_f32 v[46:47], v[16:17], v[2:3], v[44:45] op_sel:[0,0,1] op_sel_hi:[1,1,0] neg_lo:[0,0,1] neg_hi:[0,0,1]
	v_pk_fma_f32 v[2:3], v[16:17], v[2:3], v[44:45] op_sel:[0,0,1] op_sel_hi:[1,0,0]
	s_nop 0
	v_mov_b32_e32 v47, v3
	v_pk_mul_f32 v[2:3], v[18:19], v[42:43] op_sel:[0,1]
	s_nop 0
	v_pk_fma_f32 v[44:45], v[18:19], v[42:43], v[2:3] op_sel:[0,0,1] op_sel_hi:[1,1,0] neg_lo:[0,0,1] neg_hi:[0,0,1]
	v_pk_fma_f32 v[2:3], v[18:19], v[42:43], v[2:3] op_sel:[0,0,1] op_sel_hi:[1,0,0]
	ds_read2_b64 v[16:19], v20 offset0:12 offset1:142
	s_waitcnt lgkmcnt(3)
	v_pk_mul_f32 v[42:43], v[4:5], v[32:33] op_sel_hi:[1,0]
	v_mov_b32_e32 v45, v3
	v_pk_fma_f32 v[48:49], v[4:5], v[32:33], v[42:43] op_sel:[0,1,1] op_sel_hi:[1,1,0] neg_lo:[1,0,0] neg_hi:[1,0,0]
	v_pk_fma_f32 v[4:5], v[4:5], v[32:33], v[42:43] op_sel:[0,1,1] op_sel_hi:[1,1,0]
	s_waitcnt lgkmcnt(2)
	v_pk_mul_f32 v[32:33], v[6:7], v[34:35] op_sel:[0,1]
	v_mov_b32_e32 v2, v3
	v_pk_fma_f32 v[42:43], v[6:7], v[34:35], v[32:33] op_sel:[0,0,1] op_sel_hi:[1,0,0]
	v_pk_fma_f32 v[6:7], v[6:7], v[34:35], v[32:33] op_sel:[0,0,1] op_sel_hi:[1,0,0] neg_lo:[0,0,1] neg_hi:[0,0,1]
	v_pk_mul_f32 v[32:33], v[8:9], v[36:37] op_sel_hi:[1,0]
	v_mov_b32_e32 v3, v44
	v_pk_fma_f32 v[34:35], v[8:9], v[36:37], v[32:33] op_sel:[0,1,1] op_sel_hi:[1,1,0] neg_lo:[1,0,0] neg_hi:[1,0,0]
	v_pk_fma_f32 v[8:9], v[8:9], v[36:37], v[32:33] op_sel:[0,1,1] op_sel_hi:[1,1,0]
	s_waitcnt lgkmcnt(1)
	v_pk_mul_f32 v[32:33], v[10:11], v[38:39] op_sel:[0,1]
	v_mov_b32_e32 v5, v49
	v_pk_fma_f32 v[36:37], v[10:11], v[38:39], v[32:33] op_sel:[0,0,1] op_sel_hi:[1,0,0]
	v_pk_fma_f32 v[10:11], v[10:11], v[38:39], v[32:33] op_sel:[0,0,1] op_sel_hi:[1,0,0] neg_lo:[0,0,1] neg_hi:[0,0,1]
	v_pk_mul_f32 v[32:33], v[12:13], v[40:41] op_sel_hi:[1,0]
	v_mov_b32_e32 v11, v37
	v_pk_fma_f32 v[36:37], v[12:13], v[40:41], v[32:33] op_sel:[0,1,1] op_sel_hi:[1,1,0] neg_lo:[1,0,0] neg_hi:[1,0,0]
	v_pk_fma_f32 v[12:13], v[12:13], v[40:41], v[32:33] op_sel:[0,1,1] op_sel_hi:[1,1,0]
	s_waitcnt lgkmcnt(0)
	v_pk_mul_f32 v[32:33], v[16:17], v[22:23] op_sel_hi:[1,0]
	v_mov_b32_e32 v9, v35
	v_pk_fma_f32 v[38:39], v[16:17], v[14:15], v[32:33] op_sel:[0,0,1] op_sel_hi:[1,0,0]
	v_pk_fma_f32 v[14:15], v[16:17], v[14:15], v[32:33] op_sel:[0,0,1] op_sel_hi:[1,0,0] neg_lo:[0,0,1] neg_hi:[0,0,1]
	v_pk_mul_f32 v[16:17], v[18:19], v[0:1] op_sel_hi:[1,0]
	v_mov_b32_e32 v13, v37
	v_pk_fma_f32 v[32:33], v[18:19], v[0:1], v[16:17] op_sel:[0,1,1] op_sel_hi:[1,1,0] neg_lo:[1,0,0] neg_hi:[1,0,0]
	v_pk_fma_f32 v[0:1], v[18:19], v[0:1], v[16:17] op_sel:[0,1,1] op_sel_hi:[1,1,0]
	v_mov_b32_e32 v34, v35
	v_mov_b32_e32 v1, v33
	;; [unrolled: 1-line block ×4, first 2 shown]
	v_pk_add_f32 v[48:49], v[4:5], v[8:9]
	v_pk_add_f32 v[50:51], v[12:13], v[8:9] neg_lo:[0,1] neg_hi:[0,1]
	v_pk_add_f32 v[8:9], v[8:9], v[2:3]
	v_pk_add_f32 v[2:3], v[0:1], v[2:3] neg_lo:[0,1] neg_hi:[0,1]
	v_mov_b32_e32 v36, v37
	v_mov_b32_e32 v37, v12
	;; [unrolled: 1-line block ×4, first 2 shown]
	v_pk_add_f32 v[50:51], v[50:51], v[2:3]
	v_pk_add_f32 v[2:3], v[48:49], v[12:13]
	v_mov_b32_e32 v7, v43
	v_mov_b32_e32 v41, v4
	v_pk_add_f32 v[42:43], v[36:37], v[32:33] neg_lo:[0,1] neg_hi:[0,1]
	v_pk_fma_f32 v[4:5], v[8:9], 0.5, v[4:5] op_sel_hi:[1,0,1] neg_lo:[1,0,0] neg_hi:[1,0,0]
	v_pk_add_f32 v[0:1], v[2:3], v[0:1]
	v_pk_add_f32 v[8:9], v[34:35], v[44:45] neg_lo:[0,1] neg_hi:[0,1]
	v_pk_add_f32 v[48:49], v[0:1], v[44:45] op_sel:[1,0] op_sel_hi:[0,1]
	v_pk_fma_f32 v[0:1], v[42:43], s[4:5], v[4:5] op_sel_hi:[1,0,1]
	v_pk_fma_f32 v[2:3], v[42:43], s[4:5], v[4:5] op_sel_hi:[1,0,1] neg_lo:[1,0,0] neg_hi:[1,0,0]
	v_pk_fma_f32 v[4:5], v[8:9], s[12:13], v[0:1] op_sel_hi:[1,0,1] neg_lo:[1,0,0] neg_hi:[1,0,0]
	v_pk_fma_f32 v[12:13], v[8:9], s[12:13], v[2:3] op_sel_hi:[1,0,1]
	v_mov_b32_e32 v15, v39
	v_pk_add_f32 v[18:19], v[30:31], v[6:7]
	v_mov_b32_e32 v0, v12
	v_mov_b32_e32 v1, v5
	v_pk_add_f32 v[52:53], v[6:7], v[46:47] neg_lo:[0,1] neg_hi:[0,1]
	v_pk_add_f32 v[18:19], v[18:19], v[10:11]
	v_pk_fma_f32 v[60:61], v[50:51], s[10:11], v[0:1] op_sel_hi:[1,0,1]
	v_pk_add_f32 v[0:1], v[10:11], v[14:15]
	v_pk_add_f32 v[16:17], v[10:11], v[14:15] neg_lo:[0,1] neg_hi:[0,1]
	v_pk_add_f32 v[38:39], v[10:11], v[6:7] neg_lo:[0,1] neg_hi:[0,1]
	v_pk_add_f32 v[54:55], v[6:7], v[46:47]
	v_pk_add_f32 v[58:59], v[14:15], v[46:47] neg_lo:[0,1] neg_hi:[0,1]
	v_pk_add_f32 v[18:19], v[18:19], v[14:15]
	v_pk_fma_f32 v[2:3], v[0:1], 0.5, v[30:31] op_sel_hi:[1,0,1] neg_lo:[1,0,0] neg_hi:[1,0,0]
	v_pk_add_f32 v[6:7], v[6:7], v[10:11] neg_lo:[0,1] neg_hi:[0,1]
	v_pk_add_f32 v[10:11], v[36:37], v[32:33]
	v_pk_add_f32 v[34:35], v[34:35], v[36:37] neg_lo:[0,1] neg_hi:[0,1]
	v_pk_mul_f32 v[36:37], v[52:53], s[4:5] op_sel_hi:[1,0]
	v_pk_add_f32 v[14:15], v[46:47], v[14:15] neg_lo:[0,1] neg_hi:[0,1]
	v_pk_fma_f32 v[54:55], v[54:55], 0.5, v[30:31] op_sel_hi:[1,0,1] neg_lo:[1,0,0] neg_hi:[1,0,0]
	v_pk_add_f32 v[14:15], v[6:7], v[14:15]
	v_pk_add_f32 v[6:7], v[2:3], v[36:37] op_sel:[0,1] op_sel_hi:[1,0] neg_lo:[0,1] neg_hi:[0,1]
	v_pk_add_f32 v[2:3], v[2:3], v[36:37] op_sel:[0,1] op_sel_hi:[1,0]
	v_pk_add_f32 v[38:39], v[38:39], v[58:59]
	v_pk_fma_f32 v[58:59], v[16:17], s[4:5], v[54:55] op_sel:[1,0,0] op_sel_hi:[0,0,1] neg_lo:[1,0,0] neg_hi:[1,0,0]
	v_pk_fma_f32 v[54:55], v[16:17], s[4:5], v[54:55] op_sel:[1,0,0] op_sel_hi:[0,0,1]
	v_pk_fma_f32 v[36:37], v[16:17], s[12:13], v[6:7] op_sel:[1,0,0] op_sel_hi:[0,0,1] neg_lo:[1,0,0] neg_hi:[1,0,0]
	v_pk_fma_f32 v[16:17], v[16:17], s[12:13], v[2:3] op_sel:[1,0,0] op_sel_hi:[0,0,1]
	v_mov_b32_e32 v2, v16
	v_mov_b32_e32 v3, v37
	v_pk_fma_f32 v[10:11], v[10:11], 0.5, v[40:41] op_sel_hi:[1,0,1] neg_lo:[1,0,0] neg_hi:[1,0,0]
	v_pk_fma_f32 v[40:41], v[14:15], s[10:11], v[2:3] op_sel_hi:[1,0,1]
	v_pk_mul_f32 v[2:3], v[8:9], s[4:5] op_sel_hi:[1,0]
	v_pk_add_f32 v[6:7], v[44:45], v[32:33] neg_lo:[0,1] neg_hi:[0,1]
	v_pk_mul_f32 v[30:31], v[42:43], s[12:13] op_sel_hi:[1,0]
	v_pk_add_f32 v[32:33], v[34:35], v[6:7]
	v_pk_add_f32 v[6:7], v[10:11], v[2:3] op_sel:[0,1] op_sel_hi:[1,0] neg_lo:[0,1] neg_hi:[0,1]
	v_pk_add_f32 v[2:3], v[10:11], v[2:3] op_sel:[0,1] op_sel_hi:[1,0]
	v_pk_add_f32 v[10:11], v[6:7], v[30:31] op_sel:[0,1] op_sel_hi:[1,0] neg_lo:[0,1] neg_hi:[0,1]
	v_pk_add_f32 v[30:31], v[2:3], v[30:31] op_sel:[0,1] op_sel_hi:[1,0]
	v_mov_b32_e32 v3, v11
	v_mov_b32_e32 v2, v30
	v_pk_fma_f32 v[2:3], v[32:33], s[10:11], v[2:3] op_sel_hi:[1,0,1]
	v_mov_b32_e32 v5, v13
	v_pk_mul_f32 v[56:57], v[52:53], s[12:13] op_sel_hi:[1,0]
	v_pk_mul_f32 v[6:7], v[2:3], s[12:13] op_sel_hi:[1,0]
	v_pk_fma_f32 v[4:5], v[50:51], s[10:11], v[4:5] op_sel_hi:[1,0,1]
	v_mov_b32_e32 v11, v31
	v_pk_add_f32 v[58:59], v[58:59], v[56:57] op_sel:[0,1] op_sel_hi:[1,0]
	v_pk_add_f32 v[54:55], v[54:55], v[56:57] op_sel:[0,1] op_sel_hi:[1,0] neg_lo:[0,1] neg_hi:[0,1]
	v_pk_fma_f32 v[8:9], v[2:3], s[18:19], v[6:7] op_sel:[0,0,1] op_sel_hi:[1,0,0] neg_lo:[0,0,1] neg_hi:[0,0,1]
	v_pk_fma_f32 v[34:35], v[2:3], s[18:19], v[6:7] op_sel:[0,0,1] op_sel_hi:[1,0,0]
	v_pk_mul_f32 v[6:7], v[4:5], s[4:5] op_sel_hi:[1,0]
	v_mov_b32_e32 v37, v17
	v_pk_fma_f32 v[10:11], v[32:33], s[10:11], v[10:11] op_sel_hi:[1,0,1]
	v_mov_b32_e32 v56, v54
	v_mov_b32_e32 v57, v59
	;; [unrolled: 1-line block ×4, first 2 shown]
	v_pk_fma_f32 v[8:9], v[4:5], s[10:11], v[6:7] op_sel:[0,0,1] op_sel_hi:[1,0,0] neg_lo:[0,0,1] neg_hi:[0,0,1]
	v_pk_fma_f32 v[4:5], v[4:5], s[10:11], v[6:7] op_sel:[0,0,1] op_sel_hi:[1,0,0]
	s_mov_b32 s5, s14
	v_pk_mul_f32 v[6:7], v[60:61], s[10:11] op_sel_hi:[1,0]
	v_pk_fma_f32 v[12:13], v[14:15], s[10:11], v[36:37] op_sel_hi:[1,0,1]
	v_pk_mul_f32 v[14:15], v[10:11], s[18:19] op_sel_hi:[1,0]
	v_mov_b32_e32 v17, 3
	v_pk_add_f32 v[18:19], v[18:19], v[46:47]
	v_pk_fma_f32 v[56:57], v[38:39], s[10:11], v[56:57] op_sel_hi:[1,0,1]
	v_pk_fma_f32 v[38:39], v[38:39], s[10:11], v[58:59] op_sel_hi:[1,0,1]
	v_mov_b32_e32 v42, v5
	v_mov_b32_e32 v43, v8
	v_pk_fma_f32 v[8:9], v[60:61], s[4:5], v[6:7] op_sel:[0,0,1] op_sel_hi:[1,1,0] neg_lo:[0,0,1] neg_hi:[0,0,1]
	v_pk_fma_f32 v[14:15], v[10:11], s[16:17], v[14:15] op_sel:[0,0,1] op_sel_hi:[1,1,0] neg_lo:[0,0,1] neg_hi:[0,0,1]
	v_mul_u32_u24_e32 v16, 0x320, v29
	v_lshlrev_b32_sdwa v17, v17, v62 dst_sel:DWORD dst_unused:UNUSED_PAD src0_sel:DWORD src1_sel:BYTE_0
	s_movk_i32 s4, 0x64
	v_pk_add_f32 v[0:1], v[18:19], v[48:49]
	v_pk_add_f32 v[2:3], v[40:41], v[34:35]
	;; [unrolled: 1-line block ×4, first 2 shown]
	v_pk_add_f32 v[8:9], v[56:57], v[8:9] neg_lo:[0,1] neg_hi:[0,1]
	v_pk_add_f32 v[10:11], v[12:13], v[14:15] op_sel:[0,1] op_sel_hi:[1,0] neg_lo:[0,1] neg_hi:[0,1]
	v_add3_u32 v22, 0, v16, v17
	v_pk_add_f32 v[12:13], v[12:13], v[14:15] op_sel:[0,1] op_sel_hi:[1,0]
	v_pk_add_f32 v[14:15], v[18:19], v[48:49] neg_lo:[0,1] neg_hi:[0,1]
	v_pk_add_f32 v[16:17], v[40:41], v[34:35] neg_lo:[0,1] neg_hi:[0,1]
	;; [unrolled: 1-line block ×3, first 2 shown]
	v_cmp_gt_u32_e32 vcc, s4, v28
	s_barrier
	ds_write2_b64 v22, v[0:1], v[2:3] offset1:10
	ds_write2_b64 v22, v[4:5], v[6:7] offset0:20 offset1:30
	ds_write2_b64 v22, v[12:13], v[14:15] offset0:40 offset1:50
	;; [unrolled: 1-line block ×4, first 2 shown]
	s_waitcnt lgkmcnt(0)
	s_barrier
	s_waitcnt lgkmcnt(0)
                                        ; implicit-def: $vgpr32
                                        ; implicit-def: $vgpr22
	s_and_saveexec_b64 s[4:5], vcc
	s_cbranch_execz .LBB0_21
; %bb.20:
	v_add_u32_e32 v4, 0x400, v122
	ds_read2_b64 v[0:3], v122 offset1:100
	ds_read2_b64 v[4:7], v4 offset0:72 offset1:172
	ds_read2_b64 v[12:15], v23 offset0:144 offset1:244
	;; [unrolled: 1-line block ×4, first 2 shown]
	v_add_u32_e32 v20, 0x1c00, v122
	ds_read2_b64 v[20:23], v20 offset0:104 offset1:204
	ds_read_b64 v[32:33], v122 offset:9600
.LBB0_21:
	s_or_b64 exec, exec, s[4:5]
	s_waitcnt lgkmcnt(0)
	s_barrier
	s_and_saveexec_b64 s[4:5], vcc
	s_cbranch_execz .LBB0_23
; %bb.22:
	v_add_u32_e32 v29, 0xffffff9c, v28
	v_cndmask_b32_e32 v29, v29, v28, vcc
	v_mul_i32_i24_e32 v30, 12, v29
	v_mov_b32_e32 v31, 0
	v_lshl_add_u64 v[30:31], v[30:31], 3, s[8:9]
	global_load_dwordx4 v[36:39], v[30:31], off offset:800
	global_load_dwordx4 v[40:43], v[30:31], off offset:784
	;; [unrolled: 1-line block ×6, first 2 shown]
	v_mov_b32_e32 v30, v33
	v_mov_b32_e32 v34, v23
	;; [unrolled: 1-line block ×10, first 2 shown]
	s_mov_b32 s24, 0x3f116cb1
	s_mov_b32 s25, 0xbf52af12
	;; [unrolled: 1-line block ×41, first 2 shown]
	s_waitcnt vmcnt(5)
	v_pk_mul_f32 v[76:77], v[30:31], v[38:39] op_sel_hi:[0,1]
	v_pk_mul_f32 v[78:79], v[34:35], v[36:37] op_sel_hi:[0,1]
	s_waitcnt vmcnt(4)
	v_pk_mul_f32 v[60:61], v[60:61], v[42:43] op_sel_hi:[0,1]
	v_pk_mul_f32 v[80:81], v[10:11], v[40:41] op_sel:[1,0]
	s_waitcnt vmcnt(3)
	v_pk_mul_f32 v[82:83], v[8:9], v[46:47] op_sel:[1,0]
	v_pk_mul_f32 v[62:63], v[62:63], v[44:45] op_sel_hi:[0,1]
	s_waitcnt vmcnt(0)
	v_mov_b32_e32 v84, v59
	v_mov_b32_e32 v85, v58
	v_pk_mul_f32 v[64:65], v[64:65], v[50:51] op_sel_hi:[0,1]
	v_pk_mul_f32 v[66:67], v[66:67], v[48:49] op_sel_hi:[0,1]
	;; [unrolled: 1-line block ×3, first 2 shown]
	v_pk_mul_f32 v[86:87], v[2:3], v[56:57] op_sel:[0,1] op_sel_hi:[1,0]
	v_pk_fma_f32 v[30:31], v[32:33], v[38:39], v[76:77] op_sel:[0,0,1] op_sel_hi:[0,1,0] neg_lo:[0,0,1] neg_hi:[0,0,1]
	v_pk_fma_f32 v[32:33], v[32:33], v[38:39], v[76:77] op_sel:[0,0,1] op_sel_hi:[0,1,0]
	v_pk_fma_f32 v[34:35], v[22:23], v[36:37], v[78:79] op_sel:[0,0,1] op_sel_hi:[0,1,0] neg_lo:[0,0,1] neg_hi:[0,0,1]
	v_pk_fma_f32 v[22:23], v[22:23], v[36:37], v[78:79] op_sel:[0,0,1] op_sel_hi:[0,1,0]
	;; [unrolled: 2-line block ×6, first 2 shown]
	v_pk_mul_f32 v[44:45], v[72:73], v[84:85]
	v_pk_mul_f32 v[70:71], v[70:71], v[56:57] op_sel:[0,1] op_sel_hi:[1,0]
	v_pk_mul_f32 v[74:75], v[74:75], v[52:53] op_sel:[0,1] op_sel_hi:[1,0]
	;; [unrolled: 1-line block ×3, first 2 shown]
	v_pk_fma_f32 v[18:19], v[16:17], v[50:51], v[64:65] op_sel:[0,0,1] op_sel_hi:[1,1,0] neg_lo:[0,0,1] neg_hi:[0,0,1]
	v_pk_fma_f32 v[50:51], v[16:17], v[50:51], v[64:65] op_sel:[0,0,1] op_sel_hi:[0,1,0]
	v_pk_fma_f32 v[16:17], v[14:15], v[48:49], v[66:67] op_sel:[0,0,1] op_sel_hi:[1,1,0] neg_lo:[0,0,1] neg_hi:[0,0,1]
	v_pk_fma_f32 v[48:49], v[14:15], v[48:49], v[66:67] op_sel:[0,0,1] op_sel_hi:[0,1,0]
	;; [unrolled: 2-line block ×3, first 2 shown]
	v_mov_b32_e32 v42, v87
	v_pk_mul_f32 v[64:65], v[4:5], v[84:85]
	v_pk_fma_f32 v[44:45], v[4:5], v[58:59], v[44:45] neg_lo:[0,0,1] neg_hi:[0,0,1]
	v_pk_fma_f32 v[40:41], v[2:3], v[56:57], v[70:71] neg_lo:[0,0,1] neg_hi:[0,0,1]
	;; [unrolled: 1-line block ×3, first 2 shown]
	v_mov_b32_e32 v46, v89
	v_pk_fma_f32 v[66:67], v[2:3], v[56:57], v[42:43] op_sel:[0,1,0] op_sel_hi:[1,0,1]
	v_mov_b32_e32 v2, v65
	v_mov_b32_e32 v15, v55
	v_mov_b32_e32 v9, v63
	v_mov_b32_e32 v19, v51
	v_pk_add_f32 v[50:51], v[44:45], v[34:35] neg_lo:[0,1] neg_hi:[0,1]
	v_pk_add_f32 v[54:55], v[44:45], v[34:35]
	v_pk_fma_f32 v[42:43], v[6:7], v[52:53], v[46:47] op_sel:[0,1,0] op_sel_hi:[1,0,1]
	v_mov_b32_e32 v11, v47
	v_pk_add_f32 v[46:47], v[12:13], v[36:37] neg_lo:[0,1] neg_hi:[0,1]
	v_mov_b32_e32 v17, v49
	v_pk_add_f32 v[6:7], v[12:13], v[36:37]
	v_pk_fma_f32 v[48:49], v[4:5], v[84:85], v[2:3]
	v_mov_b32_e32 v55, v50
	v_pk_add_f32 v[50:51], v[18:19], v[8:9] neg_lo:[0,1] neg_hi:[0,1]
	v_pk_add_f32 v[52:53], v[40:41], v[30:31] neg_lo:[0,1] neg_hi:[0,1]
	v_pk_add_f32 v[90:91], v[40:41], v[30:31]
	v_mov_b32_e32 v7, v46
	v_pk_add_f32 v[46:47], v[18:19], v[8:9]
	v_mov_b32_e32 v65, v50
	v_mov_b32_e32 v50, v33
	;; [unrolled: 1-line block ×8, first 2 shown]
	v_pk_add_f32 v[86:87], v[66:67], v[50:51] neg_lo:[0,1] neg_hi:[0,1]
	v_pk_add_f32 v[50:51], v[28:29], v[22:23]
	v_mov_b32_e32 v22, v23
	v_pk_add_f32 v[52:53], v[12:13], v[32:33]
	v_pk_add_f32 v[58:59], v[14:15], v[20:21] neg_lo:[0,1] neg_hi:[0,1]
	v_pk_add_f32 v[2:3], v[14:15], v[20:21]
	v_pk_add_f32 v[62:63], v[16:17], v[10:11] neg_lo:[0,1] neg_hi:[0,1]
	;; [unrolled: 2-line block ×3, first 2 shown]
	v_mov_b32_e32 v52, v86
	v_pk_mul_f32 v[66:67], v[90:91], s[24:25]
	v_mov_b32_e32 v56, v2
	v_mov_b32_e32 v57, v58
	;; [unrolled: 1-line block ×7, first 2 shown]
	v_pk_fma_f32 v[58:59], v[86:87], s[10:11], v[66:67] neg_lo:[1,0,0] neg_hi:[1,0,0]
	v_pk_fma_f32 v[62:63], v[52:53], s[10:11], v[66:67]
	v_pk_mul_f32 v[70:71], v[54:55], s[20:21]
	v_mov_b32_e32 v59, v63
	v_pk_fma_f32 v[72:73], v[88:89], s[8:9], v[70:71] neg_lo:[1,0,0] neg_hi:[1,0,0]
	v_pk_fma_f32 v[68:69], v[50:51], s[8:9], v[70:71]
	v_pk_add_f32 v[58:59], v[0:1], v[58:59]
	v_mov_b32_e32 v73, v69
	v_mov_b32_e32 v29, v42
	;; [unrolled: 1-line block ×3, first 2 shown]
	v_pk_add_f32 v[76:77], v[72:73], v[58:59]
	v_pk_add_f32 v[58:59], v[28:29], v[38:39]
	v_pk_add_f32 v[96:97], v[42:43], v[22:23] neg_lo:[0,1] neg_hi:[0,1]
	v_pk_mul_f32 v[74:75], v[6:7], s[28:29]
	v_mov_b32_e32 v58, v96
	v_pk_fma_f32 v[78:79], v[96:97], s[12:13], v[74:75] neg_lo:[1,0,0] neg_hi:[1,0,0]
	v_pk_fma_f32 v[72:73], v[58:59], s[12:13], v[74:75]
	v_pk_mul_f32 v[84:85], v[60:61], s[42:43]
	v_mov_b32_e32 v79, v73
	v_pk_add_f32 v[80:81], v[78:79], v[76:77]
	v_pk_mul_f32 v[78:79], v[56:57], s[44:45]
	v_pk_fma_f32 v[92:93], v[4:5], s[18:19], v[84:85] neg_lo:[1,0,0] neg_hi:[1,0,0]
	v_pk_fma_f32 v[82:83], v[2:3], s[14:15], v[78:79] neg_lo:[1,0,0] neg_hi:[1,0,0]
	v_pk_fma_f32 v[76:77], v[2:3], s[14:15], v[78:79]
	v_pk_mul_f32 v[104:105], v[54:55], s[28:29]
	v_mov_b32_e32 v83, v77
	v_pk_add_f32 v[80:81], v[82:83], v[80:81]
	v_pk_fma_f32 v[82:83], v[4:5], s[18:19], v[84:85]
	v_pk_fma_f32 v[108:109], v[88:89], s[12:13], v[104:105] neg_lo:[1,0,0] neg_hi:[1,0,0]
	v_mov_b32_e32 v93, v83
	v_pk_add_f32 v[98:99], v[92:93], v[80:81]
	v_pk_mul_f32 v[80:81], v[90:91], s[40:41]
	s_mov_b32 s41, 0x3eedf032
	s_mov_b32 s26, s41
	v_pk_mul_f32 v[94:95], v[64:65], s[40:41]
	v_add_u32_e32 v22, 0x400, v122
	v_pk_fma_f32 v[100:101], v[46:47], s[26:27], v[94:95] neg_lo:[1,0,0] neg_hi:[1,0,0]
	v_pk_fma_f32 v[92:93], v[46:47], s[26:27], v[94:95]
	v_pk_mul_f32 v[130:131], v[54:55], s[44:45]
	v_mov_b32_e32 v101, v93
	v_pk_add_f32 v[124:125], v[100:101], v[98:99]
	v_pk_mul_f32 v[100:101], v[90:91], s[36:37]
	v_pk_fma_f32 v[132:133], v[88:89], s[14:15], v[130:131] neg_lo:[1,0,0] neg_hi:[1,0,0]
	v_pk_fma_f32 v[102:103], v[86:87], s[22:23], v[100:101] neg_lo:[1,0,0] neg_hi:[1,0,0]
	v_pk_fma_f32 v[98:99], v[52:53], s[22:23], v[100:101]
	v_pk_fma_f32 v[134:135], v[50:51], s[14:15], v[130:131]
	v_mov_b32_e32 v103, v99
	v_pk_add_f32 v[106:107], v[0:1], v[102:103]
	v_pk_fma_f32 v[102:103], v[50:51], s[12:13], v[104:105]
	v_mov_b32_e32 v133, v135
	v_mov_b32_e32 v109, v103
	v_pk_add_f32 v[110:111], v[108:109], v[106:107]
	v_pk_mul_f32 v[108:109], v[6:7], s[34:35]
	s_mov_b32 s34, s31
	v_pk_fma_f32 v[112:113], v[96:97], s[38:39], v[108:109] neg_lo:[1,0,0] neg_hi:[1,0,0]
	v_pk_fma_f32 v[106:107], v[58:59], s[38:39], v[108:109]
	s_mov_b32 s35, s30
	v_mov_b32_e32 v113, v107
	v_pk_add_f32 v[114:115], v[112:113], v[110:111]
	v_pk_mul_f32 v[112:113], v[56:57], s[40:41]
	s_mov_b32 s44, s49
	v_pk_fma_f32 v[116:117], v[2:3], s[26:27], v[112:113] neg_lo:[1,0,0] neg_hi:[1,0,0]
	v_pk_fma_f32 v[110:111], v[2:3], s[26:27], v[112:113]
	s_mov_b32 s45, s28
	v_mov_b32_e32 v117, v111
	v_pk_add_f32 v[118:119], v[116:117], v[114:115]
	v_pk_mul_f32 v[116:117], v[60:61], s[24:25]
	v_pk_mul_f32 v[156:157], v[54:55], s[42:43]
	v_pk_fma_f32 v[120:121], v[4:5], s[10:11], v[116:117] neg_lo:[1,0,0] neg_hi:[1,0,0]
	v_pk_fma_f32 v[114:115], v[4:5], s[10:11], v[116:117]
	v_pk_fma_f32 v[158:159], v[88:89], s[18:19], v[156:157] neg_lo:[1,0,0] neg_hi:[1,0,0]
	v_mov_b32_e32 v121, v115
	v_pk_add_f32 v[126:127], v[120:121], v[118:119]
	v_pk_mul_f32 v[120:121], v[64:65], s[30:31]
	v_pk_fma_f32 v[160:161], v[50:51], s[18:19], v[156:157]
	v_pk_fma_f32 v[128:129], v[46:47], s[34:35], v[120:121] neg_lo:[1,0,0] neg_hi:[1,0,0]
	v_pk_fma_f32 v[118:119], v[46:47], s[34:35], v[120:121]
	v_mov_b32_e32 v159, v161
	v_mov_b32_e32 v129, v119
	v_pk_add_f32 v[126:127], v[128:129], v[126:127]
	ds_write2_b64 v22, v[124:125], v[126:127] offset0:72 offset1:172
	v_pk_mul_f32 v[124:125], v[90:91], s[20:21]
	v_add_u32_e32 v22, 0x800, v122
	v_pk_fma_f32 v[126:127], v[86:87], s[8:9], v[124:125] neg_lo:[1,0,0] neg_hi:[1,0,0]
	v_pk_fma_f32 v[128:129], v[52:53], s[8:9], v[124:125]
	v_pk_fma_f32 v[124:125], v[52:53], s[8:9], v[124:125] neg_lo:[0,0,1] neg_hi:[0,0,1]
	v_mov_b32_e32 v127, v129
	v_pk_add_f32 v[126:127], v[0:1], v[126:127]
	v_mov_b32_e32 v129, v125
	v_pk_add_f32 v[126:127], v[132:133], v[126:127]
	v_pk_mul_f32 v[132:133], v[6:7], s[40:41]
	v_pk_fma_f32 v[124:125], v[50:51], s[14:15], v[130:131] neg_lo:[0,0,1] neg_hi:[0,0,1]
	v_pk_fma_f32 v[136:137], v[96:97], s[26:27], v[132:133] neg_lo:[1,0,0] neg_hi:[1,0,0]
	v_pk_fma_f32 v[138:139], v[58:59], s[26:27], v[132:133]
	v_mov_b32_e32 v135, v125
	v_mov_b32_e32 v137, v139
	v_pk_add_f32 v[126:127], v[136:137], v[126:127]
	v_pk_mul_f32 v[136:137], v[56:57], s[36:37]
	v_pk_add_f32 v[124:125], v[0:1], v[128:129]
	v_pk_fma_f32 v[140:141], v[2:3], s[22:23], v[136:137] neg_lo:[1,0,0] neg_hi:[1,0,0]
	v_pk_fma_f32 v[142:143], v[2:3], s[22:23], v[136:137]
	v_pk_add_f32 v[124:125], v[134:135], v[124:125]
	v_mov_b32_e32 v141, v143
	v_pk_add_f32 v[126:127], v[140:141], v[126:127]
	v_pk_mul_f32 v[140:141], v[60:61], s[48:49]
	v_mov_b32_e32 v32, v30
	v_pk_fma_f32 v[144:145], v[4:5], s[44:45], v[140:141] neg_lo:[1,0,0] neg_hi:[1,0,0]
	v_pk_fma_f32 v[146:147], v[4:5], s[44:45], v[140:141]
	v_pk_add_f32 v[30:31], v[0:1], v[12:13]
	v_mov_b32_e32 v145, v147
	v_pk_add_f32 v[126:127], v[144:145], v[126:127]
	v_pk_mul_f32 v[144:145], v[64:65], s[50:51]
	v_mov_b32_e32 v45, v48
	v_pk_fma_f32 v[148:149], v[46:47], s[46:47], v[144:145] neg_lo:[1,0,0] neg_hi:[1,0,0]
	v_pk_fma_f32 v[150:151], v[46:47], s[46:47], v[144:145]
	v_mov_b32_e32 v13, v42
	v_mov_b32_e32 v149, v151
	v_pk_add_f32 v[126:127], v[148:149], v[126:127]
	v_pk_mul_f32 v[148:149], v[90:91], s[30:31]
	v_pk_mul_f32 v[90:91], v[90:91], s[28:29]
	v_pk_fma_f32 v[152:153], v[86:87], s[34:35], v[148:149] neg_lo:[1,0,0] neg_hi:[1,0,0]
	v_pk_fma_f32 v[154:155], v[52:53], s[34:35], v[148:149]
	v_mov_b32_e32 v38, v36
	v_mov_b32_e32 v153, v155
	v_pk_add_f32 v[152:153], v[0:1], v[152:153]
	s_nop 0
	v_pk_add_f32 v[152:153], v[158:159], v[152:153]
	v_pk_mul_f32 v[158:159], v[6:7], s[24:25]
	s_nop 0
	v_pk_fma_f32 v[162:163], v[96:97], s[10:11], v[158:159] neg_lo:[1,0,0] neg_hi:[1,0,0]
	v_pk_fma_f32 v[164:165], v[58:59], s[10:11], v[158:159]
	s_nop 0
	v_mov_b32_e32 v163, v165
	v_pk_add_f32 v[152:153], v[162:163], v[152:153]
	v_pk_mul_f32 v[162:163], v[56:57], s[48:49]
	s_nop 0
	v_pk_fma_f32 v[166:167], v[2:3], s[44:45], v[162:163] neg_lo:[1,0,0] neg_hi:[1,0,0]
	v_pk_fma_f32 v[168:169], v[2:3], s[44:45], v[162:163]
	s_nop 0
	v_mov_b32_e32 v167, v169
	;; [unrolled: 7-line block ×4, first 2 shown]
	v_pk_add_f32 v[152:153], v[174:175], v[152:153]
	ds_write2_b64 v22, v[126:127], v[152:153] offset0:144 offset1:244
	v_pk_fma_f32 v[126:127], v[86:87], s[12:13], v[90:91] neg_lo:[1,0,0] neg_hi:[1,0,0]
	v_pk_fma_f32 v[152:153], v[52:53], s[12:13], v[90:91]
	v_pk_mul_f32 v[174:175], v[54:55], s[40:41]
	v_mov_b32_e32 v127, v153
	v_pk_fma_f32 v[178:179], v[88:89], s[26:27], v[174:175] neg_lo:[1,0,0] neg_hi:[1,0,0]
	v_pk_fma_f32 v[180:181], v[50:51], s[26:27], v[174:175]
	v_pk_add_f32 v[126:127], v[0:1], v[126:127]
	v_mov_b32_e32 v179, v181
	v_pk_add_f32 v[126:127], v[178:179], v[126:127]
	v_pk_mul_f32 v[178:179], v[6:7], s[30:31]
	v_pk_fma_f32 v[90:91], v[52:53], s[12:13], v[90:91] neg_lo:[0,0,1] neg_hi:[0,0,1]
	v_pk_fma_f32 v[182:183], v[96:97], s[34:35], v[178:179] neg_lo:[1,0,0] neg_hi:[1,0,0]
	v_pk_fma_f32 v[184:185], v[58:59], s[34:35], v[178:179]
	v_mov_b32_e32 v153, v91
	v_mov_b32_e32 v183, v185
	v_pk_add_f32 v[126:127], v[182:183], v[126:127]
	v_pk_mul_f32 v[182:183], v[56:57], s[50:51]
	v_pk_fma_f32 v[90:91], v[50:51], s[26:27], v[174:175] neg_lo:[0,0,1] neg_hi:[0,0,1]
	v_pk_fma_f32 v[186:187], v[2:3], s[46:47], v[182:183] neg_lo:[1,0,0] neg_hi:[1,0,0]
	v_pk_fma_f32 v[188:189], v[2:3], s[46:47], v[182:183]
	v_mov_b32_e32 v181, v91
	v_mov_b32_e32 v187, v189
	v_pk_add_f32 v[126:127], v[186:187], v[126:127]
	v_pk_mul_f32 v[186:187], v[60:61], s[20:21]
	v_pk_add_f32 v[90:91], v[0:1], v[152:153]
	v_pk_fma_f32 v[190:191], v[4:5], s[8:9], v[186:187] neg_lo:[1,0,0] neg_hi:[1,0,0]
	v_pk_fma_f32 v[192:193], v[4:5], s[8:9], v[186:187]
	v_pk_fma_f32 v[152:153], v[58:59], s[34:35], v[178:179] neg_lo:[0,0,1] neg_hi:[0,0,1]
	v_mov_b32_e32 v191, v193
	v_pk_add_f32 v[90:91], v[180:181], v[90:91]
	v_mov_b32_e32 v185, v153
	v_pk_fma_f32 v[152:153], v[2:3], s[46:47], v[182:183] neg_lo:[0,0,1] neg_hi:[0,0,1]
	v_pk_add_f32 v[126:127], v[190:191], v[126:127]
	v_pk_mul_f32 v[190:191], v[64:65], s[42:43]
	v_pk_add_f32 v[90:91], v[184:185], v[90:91]
	v_mov_b32_e32 v189, v153
	v_pk_fma_f32 v[152:153], v[4:5], s[8:9], v[186:187] neg_lo:[0,0,1] neg_hi:[0,0,1]
	v_pk_fma_f32 v[194:195], v[46:47], s[18:19], v[190:191] neg_lo:[1,0,0] neg_hi:[1,0,0]
	v_pk_fma_f32 v[196:197], v[46:47], s[18:19], v[190:191]
	v_pk_add_f32 v[90:91], v[188:189], v[90:91]
	v_mov_b32_e32 v193, v153
	v_pk_fma_f32 v[152:153], v[46:47], s[18:19], v[190:191] neg_lo:[0,0,1] neg_hi:[0,0,1]
	v_mov_b32_e32 v195, v197
	v_pk_add_f32 v[90:91], v[192:193], v[90:91]
	v_mov_b32_e32 v197, v153
	v_pk_add_f32 v[126:127], v[194:195], v[126:127]
	v_pk_add_f32 v[90:91], v[196:197], v[90:91]
	v_add_u32_e32 v22, 0x1000, v122
	ds_write2_b64 v22, v[126:127], v[90:91] offset0:88 offset1:188
	v_pk_fma_f32 v[126:127], v[58:59], s[10:11], v[158:159] neg_lo:[0,0,1] neg_hi:[0,0,1]
	v_pk_fma_f32 v[90:91], v[52:53], s[34:35], v[148:149] neg_lo:[0,0,1] neg_hi:[0,0,1]
	v_mov_b32_e32 v165, v127
	v_pk_fma_f32 v[126:127], v[2:3], s[44:45], v[162:163] neg_lo:[0,0,1] neg_hi:[0,0,1]
	v_mov_b32_e32 v155, v91
	v_mov_b32_e32 v169, v127
	v_pk_fma_f32 v[126:127], v[4:5], s[26:27], v[166:167] neg_lo:[0,0,1] neg_hi:[0,0,1]
	v_pk_fma_f32 v[90:91], v[50:51], s[18:19], v[156:157] neg_lo:[0,0,1] neg_hi:[0,0,1]
	v_mov_b32_e32 v173, v127
	v_pk_fma_f32 v[126:127], v[46:47], s[8:9], v[170:171] neg_lo:[0,0,1] neg_hi:[0,0,1]
	v_mov_b32_e32 v161, v91
	v_pk_add_f32 v[90:91], v[0:1], v[154:155]
	v_mov_b32_e32 v177, v127
	v_pk_fma_f32 v[126:127], v[58:59], s[26:27], v[132:133] neg_lo:[0,0,1] neg_hi:[0,0,1]
	v_pk_add_f32 v[90:91], v[160:161], v[90:91]
	v_mov_b32_e32 v139, v127
	v_pk_fma_f32 v[126:127], v[2:3], s[22:23], v[136:137] neg_lo:[0,0,1] neg_hi:[0,0,1]
	v_pk_add_f32 v[90:91], v[164:165], v[90:91]
	v_pk_add_f32 v[124:125], v[138:139], v[124:125]
	v_mov_b32_e32 v143, v127
	v_pk_fma_f32 v[126:127], v[4:5], s[44:45], v[140:141] neg_lo:[0,0,1] neg_hi:[0,0,1]
	v_pk_add_f32 v[90:91], v[168:169], v[90:91]
	v_pk_add_f32 v[124:125], v[142:143], v[124:125]
	v_mov_b32_e32 v147, v127
	v_pk_fma_f32 v[126:127], v[46:47], s[46:47], v[144:145] neg_lo:[0,0,1] neg_hi:[0,0,1]
	v_pk_add_f32 v[90:91], v[172:173], v[90:91]
	v_pk_add_f32 v[124:125], v[146:147], v[124:125]
	v_mov_b32_e32 v151, v127
	v_pk_add_f32 v[90:91], v[176:177], v[90:91]
	v_pk_add_f32 v[124:125], v[150:151], v[124:125]
	v_add_u32_e32 v22, 0x1800, v122
	ds_write2_b64 v22, v[90:91], v[124:125] offset0:32 offset1:132
	v_mov_b32_e32 v22, v34
	v_pk_add_f32 v[34:35], v[0:1], v[40:41]
	v_pk_mul_f32 v[6:7], v[6:7], s[36:37]
	v_mov_b32_e32 v35, v31
	v_pk_add_f32 v[30:31], v[34:35], v[44:45]
	s_nop 0
	v_pk_add_f32 v[12:13], v[30:31], v[12:13]
	s_nop 0
	v_pk_add_f32 v[12:13], v[12:13], v[14:15]
	v_pk_mul_f32 v[14:15], v[54:55], s[24:25]
	v_pk_add_f32 v[12:13], v[12:13], v[16:17]
	v_pk_fma_f32 v[16:17], v[88:89], s[10:11], v[14:15] neg_lo:[1,0,0] neg_hi:[1,0,0]
	v_pk_add_f32 v[12:13], v[12:13], v[18:19]
	v_pk_fma_f32 v[18:19], v[50:51], s[10:11], v[14:15]
	v_pk_add_f32 v[8:9], v[12:13], v[8:9]
	v_pk_fma_f32 v[12:13], v[52:53], s[16:17], v[80:81]
	v_pk_add_f32 v[8:9], v[8:9], v[10:11]
	v_pk_fma_f32 v[10:11], v[86:87], s[16:17], v[80:81] neg_lo:[1,0,0] neg_hi:[1,0,0]
	v_mov_b32_e32 v17, v19
	v_mov_b32_e32 v11, v13
	v_pk_add_f32 v[10:11], v[0:1], v[10:11]
	v_pk_add_f32 v[8:9], v[8:9], v[20:21]
	;; [unrolled: 1-line block ×3, first 2 shown]
	v_pk_fma_f32 v[16:17], v[96:97], s[22:23], v[6:7] neg_lo:[1,0,0] neg_hi:[1,0,0]
	v_pk_fma_f32 v[20:21], v[58:59], s[22:23], v[6:7]
	v_pk_add_f32 v[8:9], v[8:9], v[38:39]
	v_mov_b32_e32 v17, v21
	v_pk_add_f32 v[10:11], v[16:17], v[10:11]
	v_pk_mul_f32 v[16:17], v[56:57], s[20:21]
	v_pk_add_f32 v[8:9], v[8:9], v[22:23]
	v_pk_fma_f32 v[22:23], v[2:3], s[8:9], v[16:17] neg_lo:[1,0,0] neg_hi:[1,0,0]
	v_pk_fma_f32 v[30:31], v[2:3], s[8:9], v[16:17]
	v_pk_add_f32 v[8:9], v[8:9], v[32:33]
	v_mov_b32_e32 v23, v31
	v_pk_add_f32 v[10:11], v[22:23], v[10:11]
	v_pk_mul_f32 v[22:23], v[60:61], s[30:31]
	v_add_u32_e32 v13, 0x1c00, v122
	v_pk_fma_f32 v[32:33], v[4:5], s[34:35], v[22:23] neg_lo:[1,0,0] neg_hi:[1,0,0]
	v_pk_fma_f32 v[34:35], v[4:5], s[34:35], v[22:23]
	v_pk_fma_f32 v[6:7], v[58:59], s[22:23], v[6:7] neg_lo:[0,0,1] neg_hi:[0,0,1]
	v_mov_b32_e32 v33, v35
	v_pk_add_f32 v[10:11], v[32:33], v[10:11]
	v_pk_mul_f32 v[32:33], v[64:65], s[28:29]
	v_mov_b32_e32 v21, v7
	v_pk_fma_f32 v[36:37], v[46:47], s[12:13], v[32:33] neg_lo:[1,0,0] neg_hi:[1,0,0]
	v_pk_fma_f32 v[38:39], v[46:47], s[12:13], v[32:33]
	s_nop 0
	v_mov_b32_e32 v37, v39
	v_pk_add_f32 v[10:11], v[36:37], v[10:11]
	ds_write2_b64 v122, v[8:9], v[10:11] offset1:100
	v_pk_fma_f32 v[10:11], v[58:59], s[38:39], v[108:109] neg_lo:[0,0,1] neg_hi:[0,0,1]
	v_pk_fma_f32 v[8:9], v[52:53], s[22:23], v[100:101] neg_lo:[0,0,1] neg_hi:[0,0,1]
	v_mov_b32_e32 v107, v11
	v_pk_fma_f32 v[10:11], v[2:3], s[26:27], v[112:113] neg_lo:[0,0,1] neg_hi:[0,0,1]
	v_mov_b32_e32 v99, v9
	v_mov_b32_e32 v111, v11
	v_pk_fma_f32 v[10:11], v[4:5], s[10:11], v[116:117] neg_lo:[0,0,1] neg_hi:[0,0,1]
	v_pk_fma_f32 v[8:9], v[50:51], s[12:13], v[104:105] neg_lo:[0,0,1] neg_hi:[0,0,1]
	v_mov_b32_e32 v115, v11
	v_pk_fma_f32 v[10:11], v[46:47], s[34:35], v[120:121] neg_lo:[0,0,1] neg_hi:[0,0,1]
	v_mov_b32_e32 v103, v9
	v_mov_b32_e32 v119, v11
	v_pk_fma_f32 v[10:11], v[52:53], s[10:11], v[66:67] neg_lo:[0,0,1] neg_hi:[0,0,1]
	v_pk_add_f32 v[8:9], v[0:1], v[98:99]
	v_mov_b32_e32 v63, v11
	v_pk_fma_f32 v[10:11], v[50:51], s[8:9], v[70:71] neg_lo:[0,0,1] neg_hi:[0,0,1]
	v_pk_fma_f32 v[36:37], v[58:59], s[12:13], v[74:75] neg_lo:[0,0,1] neg_hi:[0,0,1]
	v_mov_b32_e32 v69, v11
	v_pk_add_f32 v[10:11], v[0:1], v[62:63]
	v_pk_add_f32 v[8:9], v[102:103], v[8:9]
	;; [unrolled: 1-line block ×3, first 2 shown]
	v_mov_b32_e32 v73, v37
	v_pk_fma_f32 v[36:37], v[2:3], s[14:15], v[78:79] neg_lo:[0,0,1] neg_hi:[0,0,1]
	v_pk_add_f32 v[8:9], v[106:107], v[8:9]
	v_pk_add_f32 v[10:11], v[72:73], v[10:11]
	v_mov_b32_e32 v77, v37
	v_pk_fma_f32 v[36:37], v[4:5], s[18:19], v[84:85] neg_lo:[0,0,1] neg_hi:[0,0,1]
	v_pk_add_f32 v[8:9], v[110:111], v[8:9]
	v_pk_add_f32 v[10:11], v[76:77], v[10:11]
	;; [unrolled: 4-line block ×3, first 2 shown]
	v_mov_b32_e32 v93, v37
	v_pk_add_f32 v[8:9], v[118:119], v[8:9]
	v_pk_add_f32 v[10:11], v[92:93], v[10:11]
	ds_write2_b64 v13, v[8:9], v[10:11] offset0:104 offset1:204
	v_pk_fma_f32 v[8:9], v[52:53], s[16:17], v[80:81] neg_lo:[0,0,1] neg_hi:[0,0,1]
	v_pk_fma_f32 v[2:3], v[2:3], s[8:9], v[16:17] neg_lo:[0,0,1] neg_hi:[0,0,1]
	v_mov_b32_e32 v13, v9
	v_pk_fma_f32 v[8:9], v[50:51], s[10:11], v[14:15] neg_lo:[0,0,1] neg_hi:[0,0,1]
	v_pk_add_f32 v[0:1], v[0:1], v[12:13]
	v_mov_b32_e32 v19, v9
	v_pk_add_f32 v[0:1], v[18:19], v[0:1]
	v_mov_b32_e32 v31, v3
	v_pk_add_f32 v[0:1], v[20:21], v[0:1]
	v_pk_fma_f32 v[2:3], v[4:5], s[34:35], v[22:23] neg_lo:[0,0,1] neg_hi:[0,0,1]
	v_pk_add_f32 v[0:1], v[30:31], v[0:1]
	v_mov_b32_e32 v35, v3
	v_pk_fma_f32 v[2:3], v[46:47], s[12:13], v[32:33] neg_lo:[0,0,1] neg_hi:[0,0,1]
	v_pk_add_f32 v[0:1], v[34:35], v[0:1]
	v_mov_b32_e32 v39, v3
	v_pk_add_f32 v[0:1], v[38:39], v[0:1]
	ds_write_b64 v122, v[0:1] offset:9600
.LBB0_23:
	s_or_b64 exec, exec, s[4:5]
	s_waitcnt lgkmcnt(0)
	s_barrier
	s_and_saveexec_b64 s[4:5], s[0:1]
	s_cbranch_execz .LBB0_25
; %bb.24:
	v_mul_lo_u32 v0, s3, v26
	v_mul_lo_u32 v1, s2, v27
	v_mad_u64_u32 v[4:5], s[0:1], s2, v26, 0
	v_lshl_add_u32 v10, v28, 3, 0
	v_add3_u32 v5, v5, v1, v0
	ds_read2_b64 v[0:3], v10 offset1:130
	v_lshl_add_u64 v[4:5], v[4:5], 3, s[6:7]
	v_mov_b32_e32 v29, 0
	v_lshl_add_u64 v[8:9], v[24:25], 3, v[4:5]
	v_lshl_add_u64 v[4:5], v[28:29], 3, v[8:9]
	s_waitcnt lgkmcnt(0)
	global_store_dwordx2 v[4:5], v[0:1], off
	v_add_u32_e32 v4, 0x800, v10
	ds_read2_b64 v[4:7], v4 offset0:4 offset1:134
	v_add_u32_e32 v0, 0x82, v28
	v_mov_b32_e32 v1, v29
	v_lshl_add_u64 v[0:1], v[0:1], 3, v[8:9]
	global_store_dwordx2 v[0:1], v[2:3], off
	v_add_u32_e32 v0, 0x104, v28
	v_mov_b32_e32 v1, v29
	v_lshl_add_u64 v[0:1], v[0:1], 3, v[8:9]
	s_waitcnt lgkmcnt(0)
	global_store_dwordx2 v[0:1], v[4:5], off
	v_add_u32_e32 v0, 0x186, v28
	v_mov_b32_e32 v1, v29
	v_lshl_add_u64 v[4:5], v[0:1], 3, v[8:9]
	v_add_u32_e32 v0, 0x1000, v10
	ds_read2_b64 v[0:3], v0 offset0:8 offset1:138
	global_store_dwordx2 v[4:5], v[6:7], off
	v_add_u32_e32 v4, 0x208, v28
	v_mov_b32_e32 v5, v29
	v_lshl_add_u64 v[4:5], v[4:5], 3, v[8:9]
	s_waitcnt lgkmcnt(0)
	global_store_dwordx2 v[4:5], v[0:1], off
	v_add_u32_e32 v4, 0x1800, v10
	ds_read2_b64 v[4:7], v4 offset0:12 offset1:142
	v_add_u32_e32 v0, 0x28a, v28
	v_mov_b32_e32 v1, v29
	v_lshl_add_u64 v[0:1], v[0:1], 3, v[8:9]
	global_store_dwordx2 v[0:1], v[2:3], off
	v_add_u32_e32 v0, 0x30c, v28
	v_mov_b32_e32 v1, v29
	v_lshl_add_u64 v[0:1], v[0:1], 3, v[8:9]
	s_waitcnt lgkmcnt(0)
	global_store_dwordx2 v[0:1], v[4:5], off
	v_add_u32_e32 v0, 0x38e, v28
	v_mov_b32_e32 v1, v29
	v_lshl_add_u64 v[4:5], v[0:1], 3, v[8:9]
	v_add_u32_e32 v0, 0x2000, v10
	ds_read2_b64 v[0:3], v0 offset0:16 offset1:146
	global_store_dwordx2 v[4:5], v[6:7], off
	v_add_u32_e32 v4, 0x410, v28
	v_mov_b32_e32 v5, v29
	v_lshl_add_u64 v[4:5], v[4:5], 3, v[8:9]
	v_add_u32_e32 v28, 0x492, v28
	s_waitcnt lgkmcnt(0)
	global_store_dwordx2 v[4:5], v[0:1], off
	v_lshl_add_u64 v[0:1], v[28:29], 3, v[8:9]
	global_store_dwordx2 v[0:1], v[2:3], off
.LBB0_25:
	s_endpgm
	.section	.rodata,"a",@progbits
	.p2align	6, 0x0
	.amdhsa_kernel fft_rtc_fwd_len1300_factors_10_10_13_wgs_130_tpt_130_sp_op_CI_CI_unitstride_sbrr_C2R_dirReg
		.amdhsa_group_segment_fixed_size 0
		.amdhsa_private_segment_fixed_size 0
		.amdhsa_kernarg_size 104
		.amdhsa_user_sgpr_count 2
		.amdhsa_user_sgpr_dispatch_ptr 0
		.amdhsa_user_sgpr_queue_ptr 0
		.amdhsa_user_sgpr_kernarg_segment_ptr 1
		.amdhsa_user_sgpr_dispatch_id 0
		.amdhsa_user_sgpr_kernarg_preload_length 0
		.amdhsa_user_sgpr_kernarg_preload_offset 0
		.amdhsa_user_sgpr_private_segment_size 0
		.amdhsa_uses_dynamic_stack 0
		.amdhsa_enable_private_segment 0
		.amdhsa_system_sgpr_workgroup_id_x 1
		.amdhsa_system_sgpr_workgroup_id_y 0
		.amdhsa_system_sgpr_workgroup_id_z 0
		.amdhsa_system_sgpr_workgroup_info 0
		.amdhsa_system_vgpr_workitem_id 0
		.amdhsa_next_free_vgpr 198
		.amdhsa_next_free_sgpr 52
		.amdhsa_accum_offset 200
		.amdhsa_reserve_vcc 1
		.amdhsa_float_round_mode_32 0
		.amdhsa_float_round_mode_16_64 0
		.amdhsa_float_denorm_mode_32 3
		.amdhsa_float_denorm_mode_16_64 3
		.amdhsa_dx10_clamp 1
		.amdhsa_ieee_mode 1
		.amdhsa_fp16_overflow 0
		.amdhsa_tg_split 0
		.amdhsa_exception_fp_ieee_invalid_op 0
		.amdhsa_exception_fp_denorm_src 0
		.amdhsa_exception_fp_ieee_div_zero 0
		.amdhsa_exception_fp_ieee_overflow 0
		.amdhsa_exception_fp_ieee_underflow 0
		.amdhsa_exception_fp_ieee_inexact 0
		.amdhsa_exception_int_div_zero 0
	.end_amdhsa_kernel
	.text
.Lfunc_end0:
	.size	fft_rtc_fwd_len1300_factors_10_10_13_wgs_130_tpt_130_sp_op_CI_CI_unitstride_sbrr_C2R_dirReg, .Lfunc_end0-fft_rtc_fwd_len1300_factors_10_10_13_wgs_130_tpt_130_sp_op_CI_CI_unitstride_sbrr_C2R_dirReg
                                        ; -- End function
	.section	.AMDGPU.csdata,"",@progbits
; Kernel info:
; codeLenInByte = 8508
; NumSgprs: 58
; NumVgprs: 198
; NumAgprs: 0
; TotalNumVgprs: 198
; ScratchSize: 0
; MemoryBound: 0
; FloatMode: 240
; IeeeMode: 1
; LDSByteSize: 0 bytes/workgroup (compile time only)
; SGPRBlocks: 7
; VGPRBlocks: 24
; NumSGPRsForWavesPerEU: 58
; NumVGPRsForWavesPerEU: 198
; AccumOffset: 200
; Occupancy: 2
; WaveLimiterHint : 1
; COMPUTE_PGM_RSRC2:SCRATCH_EN: 0
; COMPUTE_PGM_RSRC2:USER_SGPR: 2
; COMPUTE_PGM_RSRC2:TRAP_HANDLER: 0
; COMPUTE_PGM_RSRC2:TGID_X_EN: 1
; COMPUTE_PGM_RSRC2:TGID_Y_EN: 0
; COMPUTE_PGM_RSRC2:TGID_Z_EN: 0
; COMPUTE_PGM_RSRC2:TIDIG_COMP_CNT: 0
; COMPUTE_PGM_RSRC3_GFX90A:ACCUM_OFFSET: 49
; COMPUTE_PGM_RSRC3_GFX90A:TG_SPLIT: 0
	.text
	.p2alignl 6, 3212836864
	.fill 256, 4, 3212836864
	.type	__hip_cuid_8230bc04fb6e8c9b,@object ; @__hip_cuid_8230bc04fb6e8c9b
	.section	.bss,"aw",@nobits
	.globl	__hip_cuid_8230bc04fb6e8c9b
__hip_cuid_8230bc04fb6e8c9b:
	.byte	0                               ; 0x0
	.size	__hip_cuid_8230bc04fb6e8c9b, 1

	.ident	"AMD clang version 19.0.0git (https://github.com/RadeonOpenCompute/llvm-project roc-6.4.0 25133 c7fe45cf4b819c5991fe208aaa96edf142730f1d)"
	.section	".note.GNU-stack","",@progbits
	.addrsig
	.addrsig_sym __hip_cuid_8230bc04fb6e8c9b
	.amdgpu_metadata
---
amdhsa.kernels:
  - .agpr_count:     0
    .args:
      - .actual_access:  read_only
        .address_space:  global
        .offset:         0
        .size:           8
        .value_kind:     global_buffer
      - .offset:         8
        .size:           8
        .value_kind:     by_value
      - .actual_access:  read_only
        .address_space:  global
        .offset:         16
        .size:           8
        .value_kind:     global_buffer
      - .actual_access:  read_only
        .address_space:  global
        .offset:         24
        .size:           8
        .value_kind:     global_buffer
      - .actual_access:  read_only
        .address_space:  global
        .offset:         32
        .size:           8
        .value_kind:     global_buffer
      - .offset:         40
        .size:           8
        .value_kind:     by_value
      - .actual_access:  read_only
        .address_space:  global
        .offset:         48
        .size:           8
        .value_kind:     global_buffer
      - .actual_access:  read_only
        .address_space:  global
        .offset:         56
        .size:           8
        .value_kind:     global_buffer
      - .offset:         64
        .size:           4
        .value_kind:     by_value
      - .actual_access:  read_only
        .address_space:  global
        .offset:         72
        .size:           8
        .value_kind:     global_buffer
      - .actual_access:  read_only
        .address_space:  global
        .offset:         80
        .size:           8
        .value_kind:     global_buffer
      - .actual_access:  read_only
        .address_space:  global
        .offset:         88
        .size:           8
        .value_kind:     global_buffer
      - .actual_access:  write_only
        .address_space:  global
        .offset:         96
        .size:           8
        .value_kind:     global_buffer
    .group_segment_fixed_size: 0
    .kernarg_segment_align: 8
    .kernarg_segment_size: 104
    .language:       OpenCL C
    .language_version:
      - 2
      - 0
    .max_flat_workgroup_size: 130
    .name:           fft_rtc_fwd_len1300_factors_10_10_13_wgs_130_tpt_130_sp_op_CI_CI_unitstride_sbrr_C2R_dirReg
    .private_segment_fixed_size: 0
    .sgpr_count:     58
    .sgpr_spill_count: 0
    .symbol:         fft_rtc_fwd_len1300_factors_10_10_13_wgs_130_tpt_130_sp_op_CI_CI_unitstride_sbrr_C2R_dirReg.kd
    .uniform_work_group_size: 1
    .uses_dynamic_stack: false
    .vgpr_count:     198
    .vgpr_spill_count: 0
    .wavefront_size: 64
amdhsa.target:   amdgcn-amd-amdhsa--gfx950
amdhsa.version:
  - 1
  - 2
...

	.end_amdgpu_metadata
